;; amdgpu-corpus repo=ROCm/rocFFT kind=compiled arch=gfx1100 opt=O3
	.text
	.amdgcn_target "amdgcn-amd-amdhsa--gfx1100"
	.amdhsa_code_object_version 6
	.protected	bluestein_single_fwd_len3125_dim1_sp_op_CI_CI ; -- Begin function bluestein_single_fwd_len3125_dim1_sp_op_CI_CI
	.globl	bluestein_single_fwd_len3125_dim1_sp_op_CI_CI
	.p2align	8
	.type	bluestein_single_fwd_len3125_dim1_sp_op_CI_CI,@function
bluestein_single_fwd_len3125_dim1_sp_op_CI_CI: ; @bluestein_single_fwd_len3125_dim1_sp_op_CI_CI
; %bb.0:
	s_load_b128 s[16:19], s[0:1], 0x28
	v_mul_u32_u24_e32 v1, 0x20d, v0
	s_mov_b32 s2, exec_lo
	v_mov_b32_e32 v3, 0
	s_delay_alu instid0(VALU_DEP_2) | instskip(NEXT) | instid1(VALU_DEP_1)
	v_lshrrev_b32_e32 v1, 16, v1
	v_add_nc_u32_e32 v2, s15, v1
	s_waitcnt lgkmcnt(0)
	s_delay_alu instid0(VALU_DEP_1)
	v_cmpx_gt_u64_e64 s[16:17], v[2:3]
	s_cbranch_execz .LBB0_2
; %bb.1:
	s_clause 0x1
	s_load_b128 s[4:7], s[0:1], 0x18
	s_load_b128 s[8:11], s[0:1], 0x0
	v_mul_lo_u16 v1, 0x7d, v1
	s_load_b64 s[0:1], s[0:1], 0x38
	v_mov_b32_e32 v6, v2
	s_delay_alu instid0(VALU_DEP_2) | instskip(SKIP_2) | instid1(VALU_DEP_1)
	v_sub_nc_u16 v20, v0, v1
	scratch_store_b64 off, v[6:7], off      ; 8-byte Folded Spill
	v_and_b32_e32 v63, 0xffff, v20
	v_add_co_u32 v152, null, 0x7d, v63
	v_add_co_u32 v153, null, 0xfa, v63
	s_waitcnt lgkmcnt(0)
	s_load_b128 s[12:15], s[4:5], 0x0
	v_add_co_u32 v150, null, 0x177, v63
	v_add_co_u32 v151, null, 0x1f4, v63
	v_mov_b32_e32 v83, v63
	s_delay_alu instid0(VALU_DEP_1)
	v_lshlrev_b32_e32 v154, 5, v83
	s_waitcnt lgkmcnt(0)
	v_mad_u64_u32 v[0:1], null, s14, v2, 0
	v_mad_u64_u32 v[2:3], null, s12, v63, 0
	s_mul_hi_u32 s4, s12, 0x1388
	s_mul_i32 s3, s12, 0x1388
	s_mul_i32 s5, s13, 0xffffb5c8
	s_delay_alu instid0(VALU_DEP_1) | instskip(NEXT) | instid1(VALU_DEP_1)
	v_mad_u64_u32 v[4:5], null, s15, v6, v[1:2]
	v_dual_mov_b32 v1, v4 :: v_dual_lshlrev_b32 v224, 3, v63
	s_delay_alu instid0(VALU_DEP_3) | instskip(NEXT) | instid1(VALU_DEP_2)
	v_mad_u64_u32 v[5:6], null, s13, v63, v[3:4]
	v_add_co_u32 v160, s2, s8, v224
	s_delay_alu instid0(VALU_DEP_1) | instskip(NEXT) | instid1(VALU_DEP_4)
	v_add_co_ci_u32_e64 v161, null, s9, 0, s2
	v_lshlrev_b64 v[0:1], 3, v[0:1]
	global_load_b64 v[23:24], v224, s[8:9]
	v_mov_b32_e32 v3, v5
	v_add_co_u32 v4, vcc_lo, 0x1000, v160
	v_add_co_ci_u32_e32 v5, vcc_lo, 0, v161, vcc_lo
	s_delay_alu instid0(VALU_DEP_3) | instskip(SKIP_4) | instid1(VALU_DEP_4)
	v_lshlrev_b64 v[2:3], 3, v[2:3]
	v_add_co_u32 v6, vcc_lo, s18, v0
	v_add_co_ci_u32_e32 v7, vcc_lo, s19, v1, vcc_lo
	v_add_co_u32 v0, vcc_lo, 0x2000, v160
	v_add_co_ci_u32_e32 v1, vcc_lo, 0, v161, vcc_lo
	v_add_co_u32 v2, vcc_lo, v6, v2
	s_delay_alu instid0(VALU_DEP_4)
	v_add_co_ci_u32_e32 v3, vcc_lo, v7, v3, vcc_lo
	s_mul_i32 s2, s13, 0x1388
	global_load_b64 v[14:15], v[4:5], off offset:904
	s_add_i32 s2, s4, s2
	global_load_b64 v[6:7], v[2:3], off
	v_add_co_u32 v2, vcc_lo, v2, s3
	v_add_co_ci_u32_e32 v3, vcc_lo, s2, v3, vcc_lo
	s_mul_hi_u32 s4, s12, 0xffffb5c8
	s_delay_alu instid0(VALU_DEP_2) | instskip(NEXT) | instid1(VALU_DEP_2)
	v_add_co_u32 v8, vcc_lo, v2, s3
	v_add_co_ci_u32_e32 v9, vcc_lo, s2, v3, vcc_lo
	global_load_b64 v[2:3], v[2:3], off
	global_load_b64 v[16:17], v[0:1], off offset:1808
	global_load_b64 v[10:11], v[8:9], off
	s_clause 0x7
	global_load_b64 v[18:19], v224, s[8:9] offset:1000
	global_load_b64 v[250:251], v224, s[8:9] offset:2000
	;; [unrolled: 1-line block ×3, first 2 shown]
	global_load_b64 v[35:36], v[0:1], off offset:2808
	global_load_b64 v[37:38], v[0:1], off offset:3808
	;; [unrolled: 1-line block ×5, first 2 shown]
	v_add_co_u32 v4, vcc_lo, v8, s3
	v_add_co_ci_u32_e32 v5, vcc_lo, s2, v9, vcc_lo
	s_sub_i32 s4, s4, s12
	s_mulk_i32 s12, 0xb5c8
	s_add_i32 s4, s4, s5
	v_add_nc_u32_e32 v223, 0x400, v224
	v_add_nc_u32_e32 v221, 0x3c00, v224
	;; [unrolled: 1-line block ×9, first 2 shown]
	s_waitcnt vmcnt(13)
	v_dual_mov_b32 v26, v24 :: v_dual_mov_b32 v25, v23
	s_waitcnt vmcnt(12)
	s_clause 0x1
	scratch_store_b64 off, v[14:15], off offset:24
	scratch_store_b64 off, v[25:26], off offset:276
	s_waitcnt vmcnt(10)
	v_dual_mul_f32 v13, v6, v24 :: v_dual_mul_f32 v12, v3, v15
	v_mul_f32_e32 v8, v7, v24
	s_waitcnt vmcnt(9)
	scratch_store_b64 off, v[16:17], off offset:120 ; 8-byte Folded Spill
	v_fma_f32 v9, v7, v23, -v13
	v_mul_f32_e32 v7, v2, v15
	v_fmac_f32_e32 v12, v2, v14
	v_add_co_u32 v2, vcc_lo, 0x3000, v160
	global_load_b64 v[23:24], v[0:1], off offset:808
	s_waitcnt vmcnt(9)
	v_mul_f32_e32 v0, v11, v17
	v_fma_f32 v13, v3, v14, -v7
	v_add_co_ci_u32_e32 v3, vcc_lo, 0, v161, vcc_lo
	v_fmac_f32_e32 v8, v6, v25
	v_add_co_u32 v6, vcc_lo, v4, s3
	v_add_co_ci_u32_e32 v7, vcc_lo, s2, v5, vcc_lo
	global_load_b64 v[4:5], v[4:5], off
	s_clause 0x2
	global_load_b64 v[14:15], v[2:3], off offset:2712
	global_load_b64 v[33:34], v[2:3], off offset:3712
	;; [unrolled: 1-line block ×3, first 2 shown]
	v_mul_f32_e32 v1, v10, v17
	v_fmac_f32_e32 v0, v10, v16
	s_waitcnt vmcnt(2)
	v_mul_f32_e32 v10, v4, v15
	s_delay_alu instid0(VALU_DEP_3) | instskip(SKIP_3) | instid1(VALU_DEP_1)
	v_fma_f32 v1, v11, v16, -v1
	scratch_store_b64 off, v[14:15], off offset:8 ; 8-byte Folded Spill
	v_fma_f32 v11, v5, v14, -v10
	v_mul_f32_e32 v10, v5, v15
	v_fmac_f32_e32 v10, v4, v14
	v_add_co_u32 v4, vcc_lo, 0x4000, v160
	v_add_co_ci_u32_e32 v5, vcc_lo, 0, v161, vcc_lo
	v_add_co_u32 v14, vcc_lo, v6, s12
	v_add_co_ci_u32_e32 v15, vcc_lo, s4, v7, vcc_lo
	global_load_b64 v[6:7], v[6:7], off
	s_clause 0x1
	global_load_b64 v[31:32], v[4:5], off offset:3616
	global_load_b64 v[27:28], v[4:5], off offset:2616
	s_waitcnt vmcnt(1)
	v_mul_f32_e32 v16, v6, v32
	scratch_store_b64 off, v[31:32], off offset:128 ; 8-byte Folded Spill
	v_fma_f32 v17, v7, v31, -v16
	v_mul_f32_e32 v16, v7, v32
	s_delay_alu instid0(VALU_DEP_1)
	v_fmac_f32_e32 v16, v6, v31
	global_load_b64 v[6:7], v[14:15], off
	v_dual_mov_b32 v32, v19 :: v_dual_mov_b32 v31, v18
	scratch_store_b64 off, v[31:32], off offset:136 ; 8-byte Folded Spill
	s_waitcnt vmcnt(0)
	v_mul_f32_e32 v18, v6, v32
	s_delay_alu instid0(VALU_DEP_1) | instskip(SKIP_1) | instid1(VALU_DEP_1)
	v_fma_f32 v19, v7, v31, -v18
	v_mul_f32_e32 v18, v7, v32
	v_fmac_f32_e32 v18, v6, v31
	ds_store_b64 v224, v[12:13] offset:5000
	ds_store_b64 v224, v[0:1] offset:10000
	;; [unrolled: 1-line block ×4, first 2 shown]
	ds_store_2addr_b64 v224, v[8:9], v[18:19] offset1:125
	v_add_co_u32 v0, vcc_lo, v14, s3
	v_add_co_ci_u32_e32 v1, vcc_lo, s2, v15, vcc_lo
	scratch_store_b64 off, v[35:36], off offset:144 ; 8-byte Folded Spill
	v_add_co_u32 v6, vcc_lo, v0, s3
	v_add_co_ci_u32_e32 v7, vcc_lo, s2, v1, vcc_lo
	global_load_b64 v[0:1], v[0:1], off
	scratch_store_b64 off, v[37:38], off offset:156 ; 8-byte Folded Spill
	s_waitcnt vmcnt(0)
	v_mul_f32_e32 v8, v0, v248
	s_delay_alu instid0(VALU_DEP_1) | instskip(SKIP_1) | instid1(VALU_DEP_1)
	v_fma_f32 v9, v1, v247, -v8
	v_mul_f32_e32 v8, v1, v248
	v_fmac_f32_e32 v8, v0, v247
	v_add_co_u32 v0, vcc_lo, v6, s3
	v_add_co_ci_u32_e32 v1, vcc_lo, s2, v7, vcc_lo
	global_load_b64 v[6:7], v[6:7], off
	v_add_co_u32 v10, vcc_lo, v0, s3
	v_add_co_ci_u32_e32 v11, vcc_lo, s2, v1, vcc_lo
	global_load_b64 v[0:1], v[0:1], off
	v_add_co_u32 v12, vcc_lo, v10, s12
	v_add_co_ci_u32_e32 v13, vcc_lo, s4, v11, vcc_lo
	s_delay_alu instid0(VALU_DEP_2) | instskip(NEXT) | instid1(VALU_DEP_2)
	v_add_co_u32 v14, vcc_lo, v12, s3
	v_add_co_ci_u32_e32 v15, vcc_lo, s2, v13, vcc_lo
	global_load_b64 v[16:17], v[14:15], off
	s_waitcnt vmcnt(0)
	v_mul_f32_e32 v18, v16, v30
	s_delay_alu instid0(VALU_DEP_1) | instskip(SKIP_1) | instid1(VALU_DEP_1)
	v_fma_f32 v18, v17, v29, -v18
	v_mul_f32_e32 v17, v17, v30
	v_fmac_f32_e32 v17, v16, v29
	ds_store_2addr_b64 v246, v[8:9], v[17:18] offset0:110 offset1:235
	v_add_co_u32 v8, vcc_lo, v14, s3
	v_mul_f32_e32 v14, v6, v36
	v_add_co_ci_u32_e32 v9, vcc_lo, s2, v15, vcc_lo
	s_delay_alu instid0(VALU_DEP_2) | instskip(SKIP_1) | instid1(VALU_DEP_1)
	v_fma_f32 v15, v7, v35, -v14
	v_mul_f32_e32 v14, v7, v36
	v_fmac_f32_e32 v14, v6, v35
	global_load_b64 v[6:7], v[8:9], off
	s_waitcnt vmcnt(0)
	v_mul_f32_e32 v16, v6, v38
	s_delay_alu instid0(VALU_DEP_1) | instskip(SKIP_1) | instid1(VALU_DEP_1)
	v_fma_f32 v17, v7, v37, -v16
	v_mul_f32_e32 v16, v7, v38
	v_fmac_f32_e32 v16, v6, v37
	v_add_nc_u32_e32 v6, 0x2800, v224
	ds_store_2addr_b64 v6, v[14:15], v[16:17] offset0:95 offset1:220
	global_load_b64 v[14:15], v[4:5], off offset:616
	v_add_co_u32 v6, vcc_lo, v8, s3
	v_mul_f32_e32 v8, v0, v34
	v_add_co_ci_u32_e32 v7, vcc_lo, s2, v9, vcc_lo
	s_clause 0x1
	scratch_store_b64 off, v[33:34], off offset:96
	scratch_store_b64 off, v[29:30], off offset:112
	v_fma_f32 v9, v1, v33, -v8
	v_mul_f32_e32 v8, v1, v34
	s_delay_alu instid0(VALU_DEP_1) | instskip(NEXT) | instid1(VALU_DEP_1)
	v_dual_fmac_f32 v8, v0, v33 :: v_dual_add_nc_u32 v33, 0x2c00, v224
	v_mov_b32_e32 v79, v33
	s_delay_alu instid0(VALU_DEP_1)
	v_mov_b32_e32 v170, v79
	s_waitcnt vmcnt(0)
	scratch_store_b64 off, v[14:15], off offset:104 ; 8-byte Folded Spill
	global_load_b64 v[31:32], v[4:5], off offset:1616
	global_load_b64 v[0:1], v[6:7], off
	s_waitcnt vmcnt(0)
	v_mul_f32_e32 v4, v0, v15
	s_delay_alu instid0(VALU_DEP_1) | instskip(SKIP_1) | instid1(VALU_DEP_1)
	v_fma_f32 v5, v1, v14, -v4
	v_mul_f32_e32 v4, v1, v15
	v_fmac_f32_e32 v4, v0, v14
	v_add_co_u32 v0, vcc_lo, v6, s3
	v_add_co_ci_u32_e32 v1, vcc_lo, s2, v7, vcc_lo
	ds_store_2addr_b64 v221, v[8:9], v[4:5] offset0:80 offset1:205
	v_add_co_u32 v4, vcc_lo, 0x5000, v160
	v_add_co_ci_u32_e32 v5, vcc_lo, 0, v161, vcc_lo
	global_load_b64 v[6:7], v[10:11], off
	s_clause 0x1
	global_load_b64 v[252:253], v[4:5], off offset:520
	global_load_b64 v[9:10], v[4:5], off offset:1520
	s_waitcnt vmcnt(0)
	scratch_store_b64 off, v[9:10], off offset:72 ; 8-byte Folded Spill
	s_clause 0x1
	global_load_b64 v[29:30], v[4:5], off offset:2520
	global_load_b64 v[17:18], v[4:5], off offset:3520
	v_mul_f32_e32 v4, v6, v253
	s_clause 0x3
	scratch_store_b64 off, v[25:26], off offset:56
	scratch_store_b64 off, v[39:40], off offset:172
	;; [unrolled: 1-line block ×4, first 2 shown]
	v_fma_f32 v5, v7, v252, -v4
	v_mul_f32_e32 v4, v7, v253
	s_clause 0x1
	scratch_store_b64 off, v[23:24], off offset:48
	scratch_store_b64 off, v[31:32], off offset:164
	v_fmac_f32_e32 v4, v6, v252
	global_load_b64 v[6:7], v[0:1], off
	v_add_co_u32 v0, vcc_lo, v0, s12
	v_add_co_ci_u32_e32 v1, vcc_lo, s4, v1, vcc_lo
	s_waitcnt vmcnt(2)
	scratch_store_b64 off, v[29:30], off offset:80 ; 8-byte Folded Spill
	s_waitcnt vmcnt(1)
	scratch_store_b64 off, v[17:18], off offset:16 ; 8-byte Folded Spill
	s_waitcnt vmcnt(0)
	v_mul_f32_e32 v8, v6, v10
	s_delay_alu instid0(VALU_DEP_1) | instskip(SKIP_1) | instid1(VALU_DEP_1)
	v_fma_f32 v8, v7, v9, -v8
	v_mul_f32_e32 v7, v7, v10
	v_dual_fmac_f32 v7, v6, v9 :: v_dual_add_nc_u32 v6, 0x5000, v224
	ds_store_2addr_b64 v6, v[4:5], v[7:8] offset0:65 offset1:190
	global_load_b64 v[4:5], v[12:13], off
	global_load_b64 v[7:8], v[0:1], off
	v_add_co_u32 v0, vcc_lo, v0, s3
	v_add_co_ci_u32_e32 v1, vcc_lo, s2, v1, vcc_lo
	s_waitcnt vmcnt(1)
	v_mul_f32_e32 v6, v4, v251
	s_delay_alu instid0(VALU_DEP_1) | instskip(SKIP_2) | instid1(VALU_DEP_1)
	v_fma_f32 v6, v5, v250, -v6
	v_mul_f32_e32 v5, v5, v251
	s_waitcnt vmcnt(0)
	v_dual_fmac_f32 v5, v4, v250 :: v_dual_mul_f32 v4, v7, v40
	s_delay_alu instid0(VALU_DEP_1) | instskip(SKIP_2) | instid1(VALU_DEP_2)
	v_fma_f32 v9, v8, v39, -v4
	v_mul_f32_e32 v8, v8, v40
	v_add_co_u32 v4, vcc_lo, v0, s3
	v_fmac_f32_e32 v8, v7, v39
	ds_store_2addr_b64 v223, v[5:6], v[8:9] offset0:122 offset1:247
	v_add_co_ci_u32_e32 v5, vcc_lo, s2, v1, vcc_lo
	global_load_b64 v[0:1], v[0:1], off
	s_waitcnt vmcnt(0)
	v_mul_f32_e32 v6, v0, v22
	s_delay_alu instid0(VALU_DEP_1) | instskip(SKIP_1) | instid1(VALU_DEP_1)
	v_fma_f32 v7, v1, v21, -v6
	v_mul_f32_e32 v6, v1, v22
	v_fmac_f32_e32 v6, v0, v21
	v_add_co_u32 v0, vcc_lo, v4, s3
	v_add_co_ci_u32_e32 v1, vcc_lo, s2, v5, vcc_lo
	s_delay_alu instid0(VALU_DEP_2) | instskip(NEXT) | instid1(VALU_DEP_2)
	v_add_co_u32 v8, vcc_lo, v0, s3
	v_add_co_ci_u32_e32 v9, vcc_lo, s2, v1, vcc_lo
	global_load_b64 v[0:1], v[0:1], off
	v_add_co_u32 v10, vcc_lo, v8, s12
	v_add_co_ci_u32_e32 v11, vcc_lo, s4, v9, vcc_lo
	s_delay_alu instid0(VALU_DEP_2) | instskip(NEXT) | instid1(VALU_DEP_2)
	v_add_co_u32 v12, vcc_lo, v10, s3
	v_add_co_ci_u32_e32 v13, vcc_lo, s2, v11, vcc_lo
	global_load_b64 v[14:15], v[12:13], off
	s_waitcnt vmcnt(0)
	v_mul_f32_e32 v16, v14, v24
	s_delay_alu instid0(VALU_DEP_1) | instskip(SKIP_1) | instid1(VALU_DEP_1)
	v_fma_f32 v16, v15, v23, -v16
	v_mul_f32_e32 v15, v15, v24
	v_fmac_f32_e32 v15, v14, v23
	ds_store_2addr_b64 v222, v[6:7], v[15:16] offset0:104 offset1:229
	v_add_co_u32 v6, vcc_lo, v12, s3
	v_add_co_ci_u32_e32 v7, vcc_lo, s2, v13, vcc_lo
	global_load_b64 v[12:13], v[2:3], off offset:712
	global_load_b64 v[2:3], v[4:5], off
	s_waitcnt vmcnt(1)
	scratch_store_b64 off, v[12:13], off offset:88 ; 8-byte Folded Spill
	s_waitcnt vmcnt(0)
	v_mul_f32_e32 v4, v2, v13
	s_delay_alu instid0(VALU_DEP_1) | instskip(SKIP_1) | instid1(VALU_DEP_1)
	v_fma_f32 v4, v3, v12, -v4
	v_mul_f32_e32 v3, v3, v13
	v_fmac_f32_e32 v3, v2, v12
	global_load_b64 v[12:13], v[6:7], off
	s_waitcnt vmcnt(0)
	v_mul_f32_e32 v2, v12, v26
	s_delay_alu instid0(VALU_DEP_1) | instskip(SKIP_1) | instid1(VALU_DEP_1)
	v_fma_f32 v14, v13, v25, -v2
	v_dual_mul_f32 v13, v13, v26 :: v_dual_add_nc_u32 v2, 0x3000, v224
	v_fmac_f32_e32 v13, v12, v25
	ds_store_2addr_b64 v2, v[3:4], v[13:14] offset0:89 offset1:214
	v_mul_f32_e32 v4, v0, v32
	v_add_co_u32 v2, vcc_lo, v6, s3
	v_add_co_ci_u32_e32 v3, vcc_lo, s2, v7, vcc_lo
	s_delay_alu instid0(VALU_DEP_3) | instskip(SKIP_1) | instid1(VALU_DEP_1)
	v_fma_f32 v5, v1, v31, -v4
	v_mul_f32_e32 v4, v1, v32
	v_fmac_f32_e32 v4, v0, v31
	global_load_b64 v[0:1], v[2:3], off
	s_waitcnt vmcnt(0)
	v_mul_f32_e32 v6, v0, v28
	s_delay_alu instid0(VALU_DEP_1) | instskip(SKIP_1) | instid1(VALU_DEP_1)
	v_fma_f32 v7, v1, v27, -v6
	v_mul_f32_e32 v6, v1, v28
	v_fmac_f32_e32 v6, v0, v27
	v_add_nc_u32_e32 v0, 0x4400, v224
	ds_store_2addr_b64 v0, v[4:5], v[6:7] offset0:74 offset1:199
	v_mov_b32_e32 v58, v0
	v_add_co_u32 v0, vcc_lo, v2, s3
	v_add_co_ci_u32_e32 v1, vcc_lo, s2, v3, vcc_lo
	global_load_b64 v[2:3], v[8:9], off
	global_load_b64 v[0:1], v[0:1], off
	s_waitcnt vmcnt(1)
	v_mul_f32_e32 v4, v2, v30
	s_delay_alu instid0(VALU_DEP_1) | instskip(SKIP_2) | instid1(VALU_DEP_1)
	v_fma_f32 v4, v3, v29, -v4
	v_mul_f32_e32 v3, v3, v30
	s_waitcnt vmcnt(0)
	v_dual_fmac_f32 v3, v2, v29 :: v_dual_mul_f32 v2, v0, v18
	s_delay_alu instid0(VALU_DEP_1) | instskip(SKIP_1) | instid1(VALU_DEP_1)
	v_fma_f32 v2, v1, v17, -v2
	v_mul_f32_e32 v1, v1, v18
	v_dual_fmac_f32 v1, v0, v17 :: v_dual_add_nc_u32 v0, 0x5800, v224
	ds_store_2addr_b64 v0, v[3:4], v[1:2] offset0:59 offset1:184
	global_load_b64 v[0:1], v[10:11], off
	global_load_b64 v[3:4], v224, s[8:9] offset:4000
	s_load_b128 s[4:7], s[6:7], 0x0
	s_waitcnt lgkmcnt(0)
	s_mul_hi_u32 s3, s4, 0x1388
	s_waitcnt vmcnt(0)
	v_mul_f32_e32 v2, v0, v4
	scratch_store_b64 off, v[3:4], off offset:64 ; 8-byte Folded Spill
	v_fma_f32 v2, v1, v3, -v2
	v_mul_f32_e32 v1, v1, v4
	s_delay_alu instid0(VALU_DEP_1)
	v_fmac_f32_e32 v1, v0, v3
	ds_store_b64 v224, v[1:2] offset:4000
	s_waitcnt lgkmcnt(0)
	s_waitcnt_vscnt null, 0x0
	s_barrier
	buffer_gl0_inv
	ds_load_2addr_b64 v[0:3], v249 offset0:116 offset1:241
	ds_load_2addr_b64 v[8:11], v245 offset0:98 offset1:223
	;; [unrolled: 1-line block ×4, first 2 shown]
	s_waitcnt lgkmcnt(0)
	v_dual_sub_f32 v16, v2, v8 :: v_dual_sub_f32 v17, v12, v6
	v_dual_add_f32 v21, v8, v6 :: v_dual_sub_f32 v54, v3, v13
	v_sub_f32_e32 v53, v9, v7
	v_add_f32_e32 v23, v3, v13
	s_delay_alu instid0(VALU_DEP_4)
	v_add_f32_e32 v51, v16, v17
	ds_load_2addr_b64 v[16:19], v224 offset1:125
	v_dual_sub_f32 v55, v8, v6 :: v_dual_sub_f32 v56, v2, v12
	s_waitcnt lgkmcnt(0)
	v_fma_f32 v45, -0.5, v21, v16
	v_dual_add_f32 v22, v9, v7 :: v_dual_sub_f32 v21, v3, v9
	v_fma_f32 v48, -0.5, v23, v17
	v_sub_f32_e32 v23, v7, v13
	s_delay_alu instid0(VALU_DEP_3) | instskip(SKIP_1) | instid1(VALU_DEP_4)
	v_fma_f32 v46, -0.5, v22, v17
	v_sub_f32_e32 v22, v13, v7
	v_dual_add_f32 v17, v17, v3 :: v_dual_fmamk_f32 v50, v55, 0x3f737871, v48
	v_fmac_f32_e32 v48, 0xbf737871, v55
	s_delay_alu instid0(VALU_DEP_3) | instskip(SKIP_1) | instid1(VALU_DEP_4)
	v_add_f32_e32 v52, v21, v22
	v_dual_sub_f32 v21, v8, v2 :: v_dual_sub_f32 v22, v6, v12
	v_dual_add_f32 v17, v17, v9 :: v_dual_fmac_f32 v50, 0xbf167918, v56
	s_delay_alu instid0(VALU_DEP_2) | instskip(NEXT) | instid1(VALU_DEP_2)
	v_dual_fmac_f32 v48, 0x3f167918, v56 :: v_dual_add_f32 v21, v21, v22
	v_dual_add_f32 v22, v2, v12 :: v_dual_add_f32 v17, v17, v7
	s_delay_alu instid0(VALU_DEP_1) | instskip(SKIP_2) | instid1(VALU_DEP_4)
	v_fma_f32 v47, -0.5, v22, v16
	v_add_f32_e32 v16, v16, v2
	v_sub_f32_e32 v22, v9, v3
	v_add_f32_e32 v17, v17, v13
	v_fmamk_f32 v3, v56, 0xbf737871, v46
	s_delay_alu instid0(VALU_DEP_4) | instskip(NEXT) | instid1(VALU_DEP_4)
	v_dual_fmamk_f32 v49, v53, 0xbf737871, v47 :: v_dual_add_f32 v16, v16, v8
	v_dual_fmac_f32 v47, 0x3f737871, v53 :: v_dual_add_f32 v22, v22, v23
	s_delay_alu instid0(VALU_DEP_3) | instskip(NEXT) | instid1(VALU_DEP_3)
	v_fmac_f32_e32 v3, 0xbf167918, v55
	v_fmac_f32_e32 v49, 0x3f167918, v54
	s_delay_alu instid0(VALU_DEP_4) | instskip(SKIP_2) | instid1(VALU_DEP_4)
	v_add_f32_e32 v16, v16, v6
	v_mul_lo_u16 v6, v20, 5
	v_fmac_f32_e32 v47, 0xbf167918, v54
	v_dual_fmac_f32 v50, 0x3e9e377a, v22 :: v_dual_fmac_f32 v49, 0x3e9e377a, v21
	s_delay_alu instid0(VALU_DEP_4) | instskip(NEXT) | instid1(VALU_DEP_4)
	v_add_f32_e32 v16, v16, v12
	v_and_b32_e32 v6, 0xffff, v6
	s_delay_alu instid0(VALU_DEP_4) | instskip(NEXT) | instid1(VALU_DEP_2)
	v_dual_fmac_f32 v47, 0x3e9e377a, v21 :: v_dual_fmac_f32 v48, 0x3e9e377a, v22
	v_lshlrev_b32_e32 v57, 3, v6
	ds_load_b64 v[12:13], v224 offset:24000
	ds_load_2addr_b64 v[6:9], v246 offset0:110 offset1:235
	ds_load_2addr_b64 v[21:24], v221 offset0:80 offset1:205
	;; [unrolled: 1-line block ×7, first 2 shown]
	v_fmamk_f32 v2, v54, 0x3f737871, v45
	v_fmac_f32_e32 v45, 0xbf737871, v54
	s_waitcnt lgkmcnt(0)
	s_barrier
	buffer_gl0_inv
	v_fmac_f32_e32 v2, 0x3f167918, v53
	v_fmac_f32_e32 v45, 0xbf167918, v53
	s_delay_alu instid0(VALU_DEP_2) | instskip(NEXT) | instid1(VALU_DEP_2)
	v_fmac_f32_e32 v2, 0x3e9e377a, v51
	v_fmac_f32_e32 v45, 0x3e9e377a, v51
	;; [unrolled: 1-line block ×3, first 2 shown]
	ds_store_2addr_b64 v57, v[16:17], v[2:3] offset1:1
	ds_store_2addr_b64 v57, v[49:50], v[47:48] offset0:2 offset1:3
	v_dual_add_f32 v3, v19, v7 :: v_dual_add_f32 v2, v18, v6
	v_add_f32_e32 v47, v11, v22
	v_sub_f32_e32 v48, v11, v7
	v_sub_f32_e32 v49, v11, v22
	s_delay_alu instid0(VALU_DEP_4) | instskip(SKIP_2) | instid1(VALU_DEP_3)
	v_dual_add_f32 v3, v3, v11 :: v_dual_add_f32 v2, v2, v10
	v_dual_sub_f32 v50, v10, v21 :: v_dual_sub_f32 v11, v7, v11
	v_add_f32_e32 v59, v7, v15
	v_dual_add_f32 v3, v3, v22 :: v_dual_sub_f32 v60, v22, v15
	v_dual_sub_f32 v61, v7, v15 :: v_dual_sub_f32 v62, v6, v14
	v_fma_f32 v7, -0.5, v47, v19
	s_delay_alu instid0(VALU_DEP_3) | instskip(SKIP_3) | instid1(VALU_DEP_3)
	v_add_f32_e32 v3, v3, v15
	v_dual_sub_f32 v15, v15, v22 :: v_dual_add_f32 v16, v10, v21
	v_dual_add_f32 v2, v2, v21 :: v_dual_fmac_f32 v19, -0.5, v59
	v_mov_b32_e32 v80, v58
	v_dual_add_f32 v22, v11, v15 :: v_dual_fmamk_f32 v15, v62, 0xbf737871, v7
	v_dual_mov_b32 v64, v57 :: v_dual_add_f32 v57, v6, v14
	v_sub_f32_e32 v17, v10, v6
	v_sub_f32_e32 v10, v6, v10
	;; [unrolled: 1-line block ×3, first 2 shown]
	v_fma_f32 v6, -0.5, v16, v18
	v_fma_f32 v18, -0.5, v57, v18
	v_fmamk_f32 v11, v50, 0x3f737871, v19
	v_fmac_f32_e32 v19, 0xbf737871, v50
	v_fmac_f32_e32 v7, 0x3f737871, v62
	v_add_f32_e32 v2, v2, v14
	v_sub_f32_e32 v14, v14, v21
	v_dual_add_f32 v16, v17, v58 :: v_dual_add_f32 v17, v48, v60
	v_fmac_f32_e32 v19, 0x3f167918, v62
	v_fmac_f32_e32 v11, 0xbf167918, v62
	s_delay_alu instid0(VALU_DEP_4) | instskip(SKIP_1) | instid1(VALU_DEP_4)
	v_dual_add_f32 v21, v10, v14 :: v_dual_fmamk_f32 v10, v49, 0xbf737871, v18
	v_fmac_f32_e32 v18, 0x3f737871, v49
	v_fmac_f32_e32 v19, 0x3e9e377a, v17
	;; [unrolled: 1-line block ×3, first 2 shown]
	v_fmamk_f32 v14, v61, 0x3f737871, v6
	v_fmac_f32_e32 v10, 0x3f167918, v61
	v_fmac_f32_e32 v18, 0xbf167918, v61
	;; [unrolled: 1-line block ×3, first 2 shown]
	v_dual_sub_f32 v17, v8, v33 :: v_dual_fmac_f32 v46, 0x3f167918, v55
	s_delay_alu instid0(VALU_DEP_4) | instskip(NEXT) | instid1(VALU_DEP_4)
	v_fmac_f32_e32 v10, 0x3e9e377a, v16
	v_fmac_f32_e32 v18, 0x3e9e377a, v16
	v_mul_u32_u24_e32 v16, 5, v152
	v_fmac_f32_e32 v14, 0x3f167918, v49
	v_fmac_f32_e32 v15, 0xbf167918, v50
	;; [unrolled: 1-line block ×3, first 2 shown]
	scratch_store_b32 off, v64, off offset:184 ; 4-byte Folded Spill
	v_lshlrev_b32_e32 v16, 3, v16
	v_dual_fmac_f32 v14, 0x3e9e377a, v21 :: v_dual_fmac_f32 v15, 0x3e9e377a, v22
	ds_store_b64 v64, v[45:46] offset:32
	ds_store_2addr_b64 v16, v[10:11], v[18:19] offset0:2 offset1:3
	ds_store_2addr_b64 v16, v[2:3], v[14:15] offset1:1
	v_dual_add_f32 v3, v25, v8 :: v_dual_fmac_f32 v6, 0xbf737871, v61
	v_dual_sub_f32 v2, v8, v29 :: v_dual_add_f32 v45, v30, v24
	v_add_f32_e32 v14, v8, v33
	s_delay_alu instid0(VALU_DEP_3) | instskip(NEXT) | instid1(VALU_DEP_4)
	v_add_f32_e32 v3, v3, v29
	v_fmac_f32_e32 v6, 0xbf167918, v49
	v_sub_f32_e32 v8, v29, v8
	v_add_f32_e32 v19, v29, v23
	v_sub_f32_e32 v29, v29, v23
	v_add_f32_e32 v18, v3, v23
	v_sub_f32_e32 v3, v33, v23
	v_sub_f32_e32 v10, v9, v30
	v_fmac_f32_e32 v7, 0x3f167918, v50
	v_dual_fmac_f32 v6, 0x3e9e377a, v21 :: v_dual_mov_b32 v47, v16
	s_delay_alu instid0(VALU_DEP_4)
	v_add_f32_e32 v21, v2, v3
	v_fma_f32 v3, -0.5, v45, v26
	v_sub_f32_e32 v46, v34, v24
	v_add_f32_e32 v11, v26, v9
	v_add_f32_e32 v15, v9, v34
	v_fma_f32 v2, -0.5, v19, v25
	v_sub_f32_e32 v16, v9, v34
	v_add_f32_e32 v19, v10, v46
	v_fmac_f32_e32 v7, 0x3e9e377a, v22
	v_add_f32_e32 v11, v11, v30
	v_sub_f32_e32 v9, v30, v9
	v_sub_f32_e32 v23, v23, v33
	scratch_store_b32 off, v47, off offset:180 ; 4-byte Folded Spill
	ds_store_b64 v47, v[6:7] offset:32
	v_fma_f32 v7, -0.5, v15, v26
	v_fmamk_f32 v15, v17, 0xbf737871, v3
	v_fmac_f32_e32 v3, 0x3f737871, v17
	v_add_f32_e32 v11, v11, v24
	v_sub_f32_e32 v30, v30, v24
	v_fma_f32 v6, -0.5, v14, v25
	s_delay_alu instid0(VALU_DEP_4) | instskip(SKIP_2) | instid1(VALU_DEP_4)
	v_dual_add_f32 v22, v8, v23 :: v_dual_fmac_f32 v3, 0x3f167918, v29
	v_sub_f32_e32 v24, v24, v34
	v_add_f32_e32 v8, v18, v33
	v_fmamk_f32 v10, v30, 0xbf737871, v6
	v_fmac_f32_e32 v6, 0x3f737871, v30
	s_delay_alu instid0(VALU_DEP_4)
	v_dual_fmac_f32 v3, 0x3e9e377a, v19 :: v_dual_add_f32 v14, v9, v24
	v_add_f32_e32 v9, v11, v34
	v_fmamk_f32 v11, v29, 0x3f737871, v7
	v_fmac_f32_e32 v7, 0xbf737871, v29
	v_fmac_f32_e32 v15, 0xbf167918, v29
	v_mul_u32_u24_e32 v18, 5, v153
	s_delay_alu instid0(VALU_DEP_4) | instskip(NEXT) | instid1(VALU_DEP_4)
	v_dual_fmac_f32 v6, 0xbf167918, v16 :: v_dual_fmac_f32 v11, 0xbf167918, v17
	v_dual_fmac_f32 v7, 0x3f167918, v17 :: v_dual_sub_f32 v34, v36, v42
	v_fmac_f32_e32 v10, 0x3f167918, v16
	s_delay_alu instid0(VALU_DEP_4) | instskip(NEXT) | instid1(VALU_DEP_4)
	v_lshlrev_b32_e32 v18, 3, v18
	v_fmac_f32_e32 v11, 0x3e9e377a, v14
	s_delay_alu instid0(VALU_DEP_4) | instskip(SKIP_4) | instid1(VALU_DEP_4)
	v_fmac_f32_e32 v7, 0x3e9e377a, v14
	v_fmamk_f32 v14, v16, 0x3f737871, v2
	v_dual_fmac_f32 v15, 0x3e9e377a, v19 :: v_dual_fmac_f32 v10, 0x3e9e377a, v22
	v_fmac_f32_e32 v6, 0x3e9e377a, v22
	v_sub_f32_e32 v22, v38, v32
	v_dual_fmac_f32 v14, 0x3f167918, v30 :: v_dual_mov_b32 v45, v18
	v_add_f32_e32 v23, v37, v35
	s_delay_alu instid0(VALU_DEP_3) | instskip(NEXT) | instid1(VALU_DEP_3)
	v_dual_sub_f32 v24, v41, v35 :: v_dual_add_f32 v17, v22, v34
	v_fmac_f32_e32 v14, 0x3e9e377a, v21
	ds_store_2addr_b64 v18, v[8:9], v[14:15] offset1:1
	ds_store_2addr_b64 v18, v[10:11], v[6:7] offset0:2 offset1:3
	v_dual_sub_f32 v15, v31, v41 :: v_dual_fmac_f32 v2, 0xbf737871, v16
	v_sub_f32_e32 v22, v39, v12
	v_dual_add_f32 v8, v31, v41 :: v_dual_add_f32 v7, v28, v38
	v_sub_f32_e32 v14, v32, v42
	s_delay_alu instid0(VALU_DEP_4) | instskip(SKIP_1) | instid1(VALU_DEP_4)
	v_dual_fmac_f32 v2, 0xbf167918, v30 :: v_dual_sub_f32 v9, v31, v37
	v_sub_f32_e32 v11, v32, v38
	v_dual_add_f32 v7, v7, v32 :: v_dual_sub_f32 v18, v37, v31
	s_delay_alu instid0(VALU_DEP_3)
	v_dual_fmac_f32 v2, 0x3e9e377a, v21 :: v_dual_sub_f32 v21, v4, v43
	v_add_f32_e32 v6, v27, v37
	v_dual_add_f32 v10, v32, v42 :: v_dual_add_f32 v25, v38, v36
	ds_store_b64 v45, v[2:3] offset:32
	v_fma_f32 v2, -0.5, v8, v27
	v_fma_f32 v27, -0.5, v23, v27
	v_add_f32_e32 v6, v6, v31
	v_sub_f32_e32 v26, v42, v36
	v_dual_sub_f32 v31, v38, v36 :: v_dual_sub_f32 v32, v37, v35
	v_fma_f32 v3, -0.5, v10, v28
	v_fmamk_f32 v8, v14, 0xbf737871, v27
	v_fmac_f32_e32 v27, 0x3f737871, v14
	v_dual_add_f32 v9, v9, v24 :: v_dual_fmac_f32 v28, -0.5, v25
	v_add_f32_e32 v10, v11, v26
	s_delay_alu instid0(VALU_DEP_4) | instskip(NEXT) | instid1(VALU_DEP_4)
	v_fmac_f32_e32 v8, 0x3f167918, v31
	v_fmac_f32_e32 v27, 0xbf167918, v31
	v_fmamk_f32 v11, v32, 0xbf737871, v3
	v_fmac_f32_e32 v3, 0x3f737871, v32
	v_sub_f32_e32 v33, v35, v41
	v_fmac_f32_e32 v8, 0x3e9e377a, v9
	v_fmac_f32_e32 v27, 0x3e9e377a, v9
	v_fmamk_f32 v9, v15, 0x3f737871, v28
	v_fmac_f32_e32 v28, 0xbf737871, v15
	v_fmac_f32_e32 v3, 0x3f167918, v15
	v_sub_f32_e32 v23, v40, v13
	v_add_f32_e32 v16, v18, v33
	v_mul_u32_u24_e32 v18, 5, v150
	v_add_f32_e32 v6, v6, v41
	v_fmac_f32_e32 v3, 0x3e9e377a, v17
	v_fmac_f32_e32 v9, 0xbf167918, v32
	v_dual_fmac_f32 v28, 0x3f167918, v32 :: v_dual_add_f32 v7, v7, v42
	v_dual_fmac_f32 v11, 0xbf167918, v15 :: v_dual_lshlrev_b32 v18, 3, v18
	s_delay_alu instid0(VALU_DEP_3) | instskip(NEXT) | instid1(VALU_DEP_3)
	v_fmac_f32_e32 v9, 0x3e9e377a, v10
	v_fmac_f32_e32 v28, 0x3e9e377a, v10
	v_fmamk_f32 v10, v31, 0x3f737871, v2
	v_dual_add_f32 v6, v6, v35 :: v_dual_sub_f32 v25, v40, v5
	v_add_f32_e32 v7, v7, v36
	v_fmac_f32_e32 v11, 0x3e9e377a, v17
	s_delay_alu instid0(VALU_DEP_4)
	v_fmac_f32_e32 v10, 0x3f167918, v14
	scratch_store_b32 off, v45, off offset:196 ; 4-byte Folded Spill
	v_fmac_f32_e32 v2, 0xbf737871, v31
	v_sub_f32_e32 v24, v4, v39
	v_sub_f32_e32 v26, v13, v44
	v_fmac_f32_e32 v10, 0x3e9e377a, v16
	ds_store_2addr_b64 v18, v[8:9], v[27:28] offset0:2 offset1:3
	ds_store_2addr_b64 v18, v[6:7], v[10:11] offset1:1
	v_dual_add_f32 v7, v5, v44 :: v_dual_add_f32 v8, v40, v13
	v_dual_mov_b32 v27, v18 :: v_dual_add_f32 v18, v1, v40
	v_sub_f32_e32 v9, v44, v13
	s_delay_alu instid0(VALU_DEP_3) | instskip(NEXT) | instid1(VALU_DEP_4)
	v_fma_f32 v7, -0.5, v7, v1
	v_fmac_f32_e32 v1, -0.5, v8
	v_sub_f32_e32 v8, v5, v40
	v_add_f32_e32 v6, v4, v43
	s_clause 0x1
	scratch_store_b32 off, v27, off offset:192
	scratch_store_b32 off, v83, off offset:152
	v_and_b32_e32 v41, 0xffff, v150
	v_add_f32_e32 v19, v8, v9
	v_fmamk_f32 v9, v21, 0x3f737871, v1
	v_dual_fmac_f32 v1, 0xbf737871, v21 :: v_dual_add_f32 v8, v39, v12
	v_mov_b32_e32 v171, v80
	s_delay_alu instid0(VALU_DEP_3) | instskip(NEXT) | instid1(VALU_DEP_3)
	v_fmac_f32_e32 v9, 0xbf167918, v22
	v_fmac_f32_e32 v1, 0x3f167918, v22
	s_delay_alu instid0(VALU_DEP_4) | instskip(NEXT) | instid1(VALU_DEP_3)
	v_fma_f32 v10, -0.5, v8, v0
	v_dual_sub_f32 v8, v39, v4 :: v_dual_fmac_f32 v9, 0x3e9e377a, v19
	s_delay_alu instid0(VALU_DEP_3) | instskip(NEXT) | instid1(VALU_DEP_1)
	v_fmac_f32_e32 v1, 0x3e9e377a, v19
	v_dual_fmac_f32 v2, 0xbf167918, v14 :: v_dual_mov_b32 v11, v1
	s_delay_alu instid0(VALU_DEP_1)
	v_dual_fmac_f32 v2, 0x3e9e377a, v16 :: v_dual_add_f32 v1, v18, v5
	v_sub_f32_e32 v18, v43, v12
	ds_store_b64 v27, v[2:3] offset:32
	v_fmamk_f32 v3, v22, 0xbf737871, v7
	v_fmac_f32_e32 v7, 0x3f737871, v22
	v_dual_add_f32 v2, v24, v18 :: v_dual_add_f32 v1, v1, v44
	v_and_b32_e32 v22, 0xff, v20
	s_delay_alu instid0(VALU_DEP_4) | instskip(NEXT) | instid1(VALU_DEP_4)
	v_fmac_f32_e32 v3, 0xbf167918, v21
	v_fmac_f32_e32 v7, 0x3f167918, v21
	v_and_b32_e32 v21, 0xff, v152
	v_fma_f32 v6, -0.5, v6, v0
	v_dual_add_f32 v0, v0, v39 :: v_dual_add_f32 v1, v1, v13
	v_mul_u32_u24_e32 v13, 5, v151
	s_delay_alu instid0(VALU_DEP_2) | instskip(SKIP_1) | instid1(VALU_DEP_2)
	v_add_f32_e32 v0, v0, v4
	v_dual_sub_f32 v4, v5, v44 :: v_dual_sub_f32 v5, v12, v43
	v_dual_add_f32 v0, v0, v43 :: v_dual_lshlrev_b32 v13, 3, v13
	s_delay_alu instid0(VALU_DEP_2) | instskip(NEXT) | instid1(VALU_DEP_3)
	v_add_f32_e32 v5, v8, v5
	v_fmamk_f32 v8, v4, 0xbf737871, v10
	v_fmac_f32_e32 v10, 0x3f737871, v4
	s_delay_alu instid0(VALU_DEP_4) | instskip(SKIP_1) | instid1(VALU_DEP_4)
	v_add_f32_e32 v0, v0, v12
	v_add_f32_e32 v12, v25, v26
	v_fmac_f32_e32 v8, 0x3f167918, v23
	s_delay_alu instid0(VALU_DEP_4) | instskip(NEXT) | instid1(VALU_DEP_3)
	v_fmac_f32_e32 v10, 0xbf167918, v23
	v_fmac_f32_e32 v3, 0x3e9e377a, v12
	s_delay_alu instid0(VALU_DEP_3) | instskip(NEXT) | instid1(VALU_DEP_3)
	v_dual_fmac_f32 v7, 0x3e9e377a, v12 :: v_dual_fmac_f32 v8, 0x3e9e377a, v2
	v_fmac_f32_e32 v10, 0x3e9e377a, v2
	v_fmamk_f32 v2, v23, 0x3f737871, v6
	v_fmac_f32_e32 v6, 0xbf737871, v23
	s_delay_alu instid0(VALU_DEP_2) | instskip(NEXT) | instid1(VALU_DEP_2)
	v_fmac_f32_e32 v2, 0x3f167918, v4
	v_fmac_f32_e32 v6, 0xbf167918, v4
	s_delay_alu instid0(VALU_DEP_2)
	v_fmac_f32_e32 v2, 0x3e9e377a, v5
	ds_store_2addr_b64 v13, v[0:1], v[2:3] offset1:1
	ds_store_2addr_b64 v13, v[8:9], v[10:11] offset0:2 offset1:3
	v_mul_lo_u16 v0, 0xcd, v22
	v_fmac_f32_e32 v6, 0x3e9e377a, v5
	scratch_store_b32 off, v13, off offset:188 ; 4-byte Folded Spill
	v_lshrrev_b16 v4, 10, v0
	v_mul_lo_u16 v0, 0xcd, v21
	ds_store_b64 v13, v[6:7] offset:32
	s_waitcnt lgkmcnt(0)
	s_waitcnt_vscnt null, 0x0
	s_barrier
	buffer_gl0_inv
	v_lshrrev_b16 v23, 10, v0
	v_mul_lo_u16 v0, v4, 5
	s_delay_alu instid0(VALU_DEP_2) | instskip(NEXT) | instid1(VALU_DEP_2)
	v_mul_lo_u16 v1, v23, 5
	v_sub_nc_u16 v0, v20, v0
	s_delay_alu instid0(VALU_DEP_2) | instskip(NEXT) | instid1(VALU_DEP_2)
	v_sub_nc_u16 v1, v152, v1
	v_and_b32_e32 v5, 0xff, v0
	s_delay_alu instid0(VALU_DEP_2) | instskip(NEXT) | instid1(VALU_DEP_2)
	v_and_b32_e32 v24, 0xff, v1
	v_lshlrev_b32_e32 v0, 5, v5
	s_clause 0x1
	global_load_b128 v[241:244], v0, s[10:11]
	global_load_b128 v[225:228], v0, s[10:11] offset:16
	ds_load_2addr_b64 v[25:28], v245 offset0:98 offset1:223
	s_waitcnt vmcnt(1) lgkmcnt(0)
	v_mul_f32_e32 v0, v26, v244
	v_mul_f32_e32 v29, v25, v244
	s_delay_alu instid0(VALU_DEP_2)
	v_fma_f32 v30, v25, v243, -v0
	v_lshlrev_b32_e32 v0, 5, v24
	s_clause 0x1
	global_load_b128 v[229:232], v0, s[10:11]
	global_load_b128 v[217:220], v0, s[10:11] offset:16
	ds_load_2addr_b64 v[33:36], v235 offset0:68 offset1:193
	v_fmac_f32_e32 v29, v26, v243
	s_waitcnt vmcnt(2) lgkmcnt(0)
	v_mul_f32_e32 v31, v33, v228
	s_waitcnt vmcnt(1)
	s_delay_alu instid0(VALU_DEP_1) | instskip(SKIP_1) | instid1(VALU_DEP_2)
	v_dual_fmac_f32 v31, v34, v227 :: v_dual_mul_f32 v0, v28, v232
	v_mul_f32_e32 v25, v27, v232
	v_fma_f32 v26, v27, v231, -v0
	s_delay_alu instid0(VALU_DEP_2) | instskip(SKIP_3) | instid1(VALU_DEP_3)
	v_dual_mul_f32 v0, v34, v228 :: v_dual_fmac_f32 v25, v28, v231
	v_and_b32_e32 v42, 0xffff, v153
	s_waitcnt vmcnt(0)
	v_dual_mul_f32 v27, v35, v220 :: v_dual_and_b32 v40, 0xffff, v151
	v_fma_f32 v32, v33, v227, -v0
	v_mul_f32_e32 v0, v36, v220
	s_delay_alu instid0(VALU_DEP_3) | instskip(NEXT) | instid1(VALU_DEP_2)
	v_fmac_f32_e32 v27, v36, v219
	v_fma_f32 v28, v35, v219, -v0
	v_and_b32_e32 v0, 0xffff, v4
	ds_load_2addr_b64 v[33:36], v234 offset0:86 offset1:211
	v_mul_u32_u24_e32 v0, 25, v0
	s_delay_alu instid0(VALU_DEP_1) | instskip(SKIP_4) | instid1(VALU_DEP_1)
	v_add_lshl_u32 v77, v0, v5, 3
	ds_load_2addr_b64 v[4:7], v249 offset0:116 offset1:241
	s_waitcnt lgkmcnt(1)
	v_mul_f32_e32 v13, v35, v226
	s_waitcnt lgkmcnt(0)
	v_dual_fmac_f32 v13, v36, v225 :: v_dual_mul_f32 v0, v7, v242
	s_delay_alu instid0(VALU_DEP_1) | instskip(SKIP_1) | instid1(VALU_DEP_3)
	v_dual_mul_f32 v14, v6, v242 :: v_dual_sub_f32 v3, v31, v13
	v_sub_f32_e32 v74, v29, v13
	v_fma_f32 v10, v6, v241, -v0
	v_mul_u32_u24_e32 v6, 0xcccd, v42
	s_delay_alu instid0(VALU_DEP_2) | instskip(NEXT) | instid1(VALU_DEP_2)
	v_dual_fmac_f32 v14, v7, v241 :: v_dual_sub_f32 v73, v10, v32
	v_lshrrev_b32_e32 v16, 18, v6
	v_mul_u32_u24_e32 v6, 0xcccd, v41
	s_delay_alu instid0(VALU_DEP_3) | instskip(SKIP_1) | instid1(VALU_DEP_3)
	v_sub_f32_e32 v2, v14, v29
	v_sub_f32_e32 v72, v14, v31
	v_lshrrev_b32_e32 v17, 18, v6
	v_mul_u32_u24_e32 v6, 0xcccd, v40
	s_delay_alu instid0(VALU_DEP_4) | instskip(NEXT) | instid1(VALU_DEP_2)
	v_dual_add_f32 v15, v2, v3 :: v_dual_mul_f32 v0, v36, v226
	v_lshrrev_b32_e32 v18, 18, v6
	v_mul_lo_u16 v6, v16, 5
	s_delay_alu instid0(VALU_DEP_3)
	v_fma_f32 v11, v35, v225, -v0
	ds_load_2addr_b64 v[35:38], v224 offset1:125
	v_sub_nc_u16 v19, v153, v6
	v_mul_lo_u16 v6, v17, 5
	v_sub_f32_e32 v1, v32, v11
	v_sub_f32_e32 v75, v30, v11
	s_delay_alu instid0(VALU_DEP_3) | instskip(SKIP_1) | instid1(VALU_DEP_2)
	v_sub_nc_u16 v39, v150, v6
	v_mul_lo_u16 v6, v18, 5
	v_mad_u16 v17, v17, 25, v39
	s_delay_alu instid0(VALU_DEP_2) | instskip(SKIP_3) | instid1(VALU_DEP_2)
	v_sub_nc_u16 v71, v151, v6
	v_lshlrev_b16 v6, 2, v19
	s_waitcnt lgkmcnt(0)
	v_add_f32_e32 v2, v35, v10
	v_and_b32_e32 v8, 0xffff, v6
	v_lshlrev_b16 v6, 2, v39
	v_add_f32_e32 v3, v36, v14
	s_delay_alu instid0(VALU_DEP_4) | instskip(NEXT) | instid1(VALU_DEP_4)
	v_add_f32_e32 v2, v2, v30
	v_lshlrev_b32_e32 v44, 3, v8
	s_delay_alu instid0(VALU_DEP_4) | instskip(SKIP_1) | instid1(VALU_DEP_4)
	v_and_b32_e32 v9, 0xffff, v6
	v_lshlrev_b16 v6, 2, v71
	v_dual_add_f32 v3, v3, v29 :: v_dual_add_f32 v2, v2, v11
	s_delay_alu instid0(VALU_DEP_3) | instskip(NEXT) | instid1(VALU_DEP_3)
	v_lshlrev_b32_e32 v45, 3, v9
	v_and_b32_e32 v43, 0xffff, v6
	ds_load_b64 v[8:9], v224 offset:24000
	v_dual_add_f32 v3, v3, v13 :: v_dual_add_f32 v2, v2, v32
	v_lshlrev_b32_e32 v43, 3, v43
	s_clause 0x5
	global_load_b128 v[88:91], v44, s[10:11]
	global_load_b128 v[100:103], v44, s[10:11] offset:16
	global_load_b128 v[92:95], v45, s[10:11]
	global_load_b128 v[104:107], v45, s[10:11] offset:16
	global_load_b128 v[96:99], v43, s[10:11]
	global_load_b128 v[108:111], v43, s[10:11] offset:16
	ds_load_2addr_b64 v[43:46], v246 offset0:110 offset1:235
	ds_load_2addr_b64 v[47:50], v221 offset0:80 offset1:205
	;; [unrolled: 1-line block ×7, first 2 shown]
	v_dual_sub_f32 v0, v10, v30 :: v_dual_add_f32 v3, v3, v31
	s_waitcnt vmcnt(0) lgkmcnt(0)
	s_barrier
	buffer_gl0_inv
	v_add_f32_e32 v12, v0, v1
	v_dual_add_f32 v0, v30, v11 :: v_dual_add_f32 v1, v29, v13
	s_delay_alu instid0(VALU_DEP_1) | instskip(NEXT) | instid1(VALU_DEP_2)
	v_fma_f32 v0, -0.5, v0, v35
	v_fma_f32 v1, -0.5, v1, v36
	s_delay_alu instid0(VALU_DEP_2) | instskip(NEXT) | instid1(VALU_DEP_2)
	v_fmamk_f32 v6, v72, 0x3f737871, v0
	v_dual_fmamk_f32 v7, v73, 0xbf737871, v1 :: v_dual_fmac_f32 v0, 0xbf737871, v72
	v_fmac_f32_e32 v1, 0x3f737871, v73
	s_delay_alu instid0(VALU_DEP_3) | instskip(NEXT) | instid1(VALU_DEP_3)
	v_fmac_f32_e32 v6, 0x3f167918, v74
	v_fmac_f32_e32 v7, 0xbf167918, v75
	s_delay_alu instid0(VALU_DEP_3) | instskip(NEXT) | instid1(VALU_DEP_2)
	v_fmac_f32_e32 v1, 0x3f167918, v75
	v_dual_fmac_f32 v6, 0x3e9e377a, v12 :: v_dual_fmac_f32 v7, 0x3e9e377a, v15
	s_delay_alu instid0(VALU_DEP_2)
	v_fmac_f32_e32 v1, 0x3e9e377a, v15
	ds_store_2addr_b64 v77, v[2:3], v[6:7] offset1:5
	v_dual_sub_f32 v2, v30, v10 :: v_dual_sub_f32 v3, v11, v32
	v_add_f32_e32 v6, v10, v32
	v_dual_add_f32 v10, v14, v31 :: v_dual_sub_f32 v7, v29, v14
	v_sub_f32_e32 v11, v13, v31
	s_delay_alu instid0(VALU_DEP_4) | instskip(NEXT) | instid1(VALU_DEP_4)
	v_add_f32_e32 v13, v2, v3
	v_fma_f32 v2, -0.5, v6, v35
	s_delay_alu instid0(VALU_DEP_4) | instskip(NEXT) | instid1(VALU_DEP_4)
	v_fma_f32 v3, -0.5, v10, v36
	v_add_f32_e32 v10, v7, v11
	s_delay_alu instid0(VALU_DEP_3) | instskip(NEXT) | instid1(VALU_DEP_3)
	v_dual_mul_f32 v11, v47, v218 :: v_dual_fmamk_f32 v6, v74, 0xbf737871, v2
	v_fmamk_f32 v7, v75, 0x3f737871, v3
	v_fmac_f32_e32 v3, 0xbf737871, v75
	s_delay_alu instid0(VALU_DEP_3) | instskip(NEXT) | instid1(VALU_DEP_3)
	v_dual_fmac_f32 v2, 0x3f737871, v74 :: v_dual_fmac_f32 v11, v48, v217
	v_fmac_f32_e32 v7, 0xbf167918, v73
	s_delay_alu instid0(VALU_DEP_3) | instskip(NEXT) | instid1(VALU_DEP_3)
	v_fmac_f32_e32 v3, 0x3f167918, v73
	v_fmac_f32_e32 v2, 0xbf167918, v72
	s_delay_alu instid0(VALU_DEP_4)
	v_sub_f32_e32 v14, v11, v27
	v_sub_f32_e32 v15, v25, v11
	v_fmac_f32_e32 v7, 0x3e9e377a, v10
	v_dual_fmac_f32 v3, 0x3e9e377a, v10 :: v_dual_mul_f32 v36, v55, v91
	v_mul_f32_e32 v32, v49, v101
	v_mul_f32_e32 v30, v45, v89
	s_delay_alu instid0(VALU_DEP_3) | instskip(NEXT) | instid1(VALU_DEP_3)
	v_fmac_f32_e32 v36, v56, v90
	v_fmac_f32_e32 v32, v50, v100
	;; [unrolled: 1-line block ×3, first 2 shown]
	s_delay_alu instid0(VALU_DEP_4) | instskip(SKIP_2) | instid1(VALU_DEP_4)
	v_fmac_f32_e32 v30, v46, v88
	v_fmac_f32_e32 v6, 0x3f167918, v72
	;; [unrolled: 1-line block ×4, first 2 shown]
	v_mul_f32_e32 v12, v43, v230
	s_delay_alu instid0(VALU_DEP_4)
	v_fmac_f32_e32 v6, 0x3e9e377a, v13
	ds_store_b64 v77, v[0:1] offset:160
	v_and_b32_e32 v0, 0xffff, v23
	ds_store_2addr_b64 v77, v[6:7], v[2:3] offset0:10 offset1:15
	v_fmac_f32_e32 v12, v44, v229
	v_mul_u32_u24_e32 v0, 25, v0
	s_delay_alu instid0(VALU_DEP_2) | instskip(SKIP_1) | instid1(VALU_DEP_3)
	v_add_f32_e32 v13, v38, v12
	v_sub_f32_e32 v23, v12, v27
	v_add_lshl_u32 v72, v0, v24, 3
	v_mul_f32_e32 v0, v48, v218
	s_delay_alu instid0(VALU_DEP_1) | instskip(SKIP_2) | instid1(VALU_DEP_3)
	v_fma_f32 v6, v47, v217, -v0
	v_mul_f32_e32 v0, v44, v230
	v_mul_f32_e32 v44, v59, v103
	v_sub_f32_e32 v2, v6, v28
	s_delay_alu instid0(VALU_DEP_3) | instskip(SKIP_1) | instid1(VALU_DEP_4)
	v_fma_f32 v7, v43, v229, -v0
	v_add_f32_e32 v0, v26, v6
	v_fmac_f32_e32 v44, v60, v102
	s_delay_alu instid0(VALU_DEP_3) | instskip(SKIP_1) | instid1(VALU_DEP_4)
	v_dual_sub_f32 v24, v26, v6 :: v_dual_add_f32 v1, v7, v28
	v_add_f32_e32 v10, v37, v7
	v_fma_f32 v0, -0.5, v0, v37
	v_sub_f32_e32 v29, v7, v28
	s_delay_alu instid0(VALU_DEP_4) | instskip(SKIP_2) | instid1(VALU_DEP_2)
	v_fma_f32 v37, -0.5, v1, v37
	v_sub_f32_e32 v1, v26, v7
	v_sub_f32_e32 v7, v7, v26
	v_add_f32_e32 v3, v1, v2
	v_add_f32_e32 v1, v25, v11
	;; [unrolled: 1-line block ×3, first 2 shown]
	s_delay_alu instid0(VALU_DEP_2) | instskip(NEXT) | instid1(VALU_DEP_2)
	v_fma_f32 v1, -0.5, v1, v38
	v_fmac_f32_e32 v38, -0.5, v2
	v_sub_f32_e32 v2, v25, v12
	s_delay_alu instid0(VALU_DEP_1) | instskip(SKIP_2) | instid1(VALU_DEP_2)
	v_add_f32_e32 v14, v2, v14
	v_fmamk_f32 v2, v15, 0xbf737871, v37
	v_fmac_f32_e32 v37, 0x3f737871, v15
	v_fmac_f32_e32 v2, 0x3f167918, v23
	s_delay_alu instid0(VALU_DEP_2) | instskip(NEXT) | instid1(VALU_DEP_2)
	v_fmac_f32_e32 v37, 0xbf167918, v23
	v_fmac_f32_e32 v2, 0x3e9e377a, v3
	s_delay_alu instid0(VALU_DEP_2) | instskip(SKIP_2) | instid1(VALU_DEP_2)
	v_fmac_f32_e32 v37, 0x3e9e377a, v3
	v_fmamk_f32 v3, v24, 0x3f737871, v38
	v_fmac_f32_e32 v38, 0xbf737871, v24
	v_fmac_f32_e32 v3, 0xbf167918, v29
	s_delay_alu instid0(VALU_DEP_2) | instskip(NEXT) | instid1(VALU_DEP_2)
	v_fmac_f32_e32 v38, 0x3f167918, v29
	v_fmac_f32_e32 v3, 0x3e9e377a, v14
	s_delay_alu instid0(VALU_DEP_2) | instskip(SKIP_4) | instid1(VALU_DEP_3)
	v_fmac_f32_e32 v38, 0x3e9e377a, v14
	ds_store_2addr_b64 v72, v[2:3], v[37:38] offset0:10 offset1:15
	v_mul_f32_e32 v2, v46, v89
	v_add_f32_e32 v3, v13, v25
	v_dual_sub_f32 v13, v30, v44 :: v_dual_mul_f32 v46, v61, v107
	v_fma_f32 v14, v45, v88, -v2
	s_delay_alu instid0(VALU_DEP_3) | instskip(SKIP_1) | instid1(VALU_DEP_2)
	v_dual_mul_f32 v2, v50, v101 :: v_dual_add_f32 v3, v3, v11
	v_sub_f32_e32 v11, v27, v11
	v_fma_f32 v31, v49, v100, -v2
	v_mul_f32_e32 v2, v56, v91
	s_delay_alu instid0(VALU_DEP_4) | instskip(SKIP_1) | instid1(VALU_DEP_3)
	v_add_f32_e32 v3, v3, v27
	v_mul_f32_e32 v27, v69, v109
	v_fma_f32 v35, v55, v90, -v2
	v_mul_f32_e32 v2, v58, v95
	s_delay_alu instid0(VALU_DEP_3) | instskip(NEXT) | instid1(VALU_DEP_2)
	v_fmac_f32_e32 v27, v70, v108
	v_fma_f32 v37, v57, v94, -v2
	v_mul_f32_e32 v2, v60, v103
	s_delay_alu instid0(VALU_DEP_1) | instskip(SKIP_1) | instid1(VALU_DEP_1)
	v_fma_f32 v43, v59, v102, -v2
	v_mul_f32_e32 v2, v62, v107
	v_fma_f32 v45, v61, v106, -v2
	v_add_f32_e32 v2, v10, v26
	v_dual_sub_f32 v10, v12, v25 :: v_dual_mul_f32 v25, v33, v99
	s_delay_alu instid0(VALU_DEP_2) | instskip(SKIP_1) | instid1(VALU_DEP_3)
	v_add_f32_e32 v2, v2, v6
	v_sub_f32_e32 v6, v28, v6
	v_add_f32_e32 v10, v10, v11
	s_delay_alu instid0(VALU_DEP_4) | instskip(NEXT) | instid1(VALU_DEP_4)
	v_fmac_f32_e32 v25, v34, v98
	v_add_f32_e32 v2, v2, v28
	s_delay_alu instid0(VALU_DEP_4) | instskip(SKIP_3) | instid1(VALU_DEP_3)
	v_add_f32_e32 v12, v7, v6
	v_fmamk_f32 v6, v23, 0x3f737871, v0
	v_dual_fmamk_f32 v7, v29, 0xbf737871, v1 :: v_dual_fmac_f32 v0, 0xbf737871, v23
	v_fmac_f32_e32 v1, 0x3f737871, v29
	v_fmac_f32_e32 v6, 0x3f167918, v15
	s_delay_alu instid0(VALU_DEP_3) | instskip(NEXT) | instid1(VALU_DEP_3)
	v_dual_fmac_f32 v7, 0xbf167918, v24 :: v_dual_fmac_f32 v0, 0xbf167918, v15
	v_fmac_f32_e32 v1, 0x3f167918, v24
	v_sub_f32_e32 v15, v36, v32
	s_delay_alu instid0(VALU_DEP_3) | instskip(NEXT) | instid1(VALU_DEP_3)
	v_dual_fmac_f32 v6, 0x3e9e377a, v12 :: v_dual_fmac_f32 v7, 0x3e9e377a, v10
	v_dual_fmac_f32 v0, 0x3e9e377a, v12 :: v_dual_fmac_f32 v1, 0x3e9e377a, v10
	v_mad_u16 v10, v16, 25, v19
	v_sub_f32_e32 v16, v14, v43
	ds_store_2addr_b64 v72, v[2:3], v[6:7] offset1:5
	v_sub_f32_e32 v2, v30, v36
	ds_store_b64 v72, v[0:1] offset:160
	v_sub_f32_e32 v0, v14, v35
	v_sub_f32_e32 v1, v43, v31
	v_dual_sub_f32 v19, v35, v31 :: v_dual_and_b32 v10, 0xffff, v10
	s_delay_alu instid0(VALU_DEP_2) | instskip(NEXT) | instid1(VALU_DEP_2)
	v_dual_add_f32 v11, v0, v1 :: v_dual_add_f32 v0, v35, v31
	v_lshlrev_b32_e32 v23, 3, v10
	s_clause 0x1
	scratch_store_b32 off, v72, off offset:200
	scratch_store_b32 off, v77, off offset:216
	v_fma_f32 v0, -0.5, v0, v51
	scratch_store_b32 off, v23, off offset:204 ; 4-byte Folded Spill
	v_fmamk_f32 v6, v13, 0x3f737871, v0
	v_fmac_f32_e32 v0, 0xbf737871, v13
	s_delay_alu instid0(VALU_DEP_2) | instskip(NEXT) | instid1(VALU_DEP_2)
	v_fmac_f32_e32 v6, 0x3f167918, v15
	v_fmac_f32_e32 v0, 0xbf167918, v15
	s_delay_alu instid0(VALU_DEP_2) | instskip(NEXT) | instid1(VALU_DEP_2)
	v_fmac_f32_e32 v6, 0x3e9e377a, v11
	v_dual_fmac_f32 v0, 0x3e9e377a, v11 :: v_dual_mul_f32 v11, v67, v105
	v_add_f32_e32 v1, v36, v32
	v_sub_f32_e32 v3, v44, v32
	s_delay_alu instid0(VALU_DEP_3) | instskip(NEXT) | instid1(VALU_DEP_3)
	v_fmac_f32_e32 v11, v68, v104
	v_fma_f32 v1, -0.5, v1, v52
	s_delay_alu instid0(VALU_DEP_3) | instskip(SKIP_2) | instid1(VALU_DEP_4)
	v_add_f32_e32 v12, v2, v3
	v_add_f32_e32 v2, v51, v14
	v_add_f32_e32 v3, v52, v30
	v_fmamk_f32 v7, v16, 0xbf737871, v1
	s_delay_alu instid0(VALU_DEP_3) | instskip(NEXT) | instid1(VALU_DEP_3)
	v_dual_fmac_f32 v1, 0x3f737871, v16 :: v_dual_add_f32 v2, v2, v35
	v_add_f32_e32 v3, v3, v36
	s_delay_alu instid0(VALU_DEP_3) | instskip(NEXT) | instid1(VALU_DEP_3)
	v_fmac_f32_e32 v7, 0xbf167918, v19
	v_fmac_f32_e32 v1, 0x3f167918, v19
	s_delay_alu instid0(VALU_DEP_3) | instskip(NEXT) | instid1(VALU_DEP_3)
	v_dual_add_f32 v2, v2, v31 :: v_dual_add_f32 v3, v3, v32
	v_fmac_f32_e32 v7, 0x3e9e377a, v12
	s_delay_alu instid0(VALU_DEP_2) | instskip(NEXT) | instid1(VALU_DEP_3)
	v_dual_fmac_f32 v1, 0x3e9e377a, v12 :: v_dual_add_f32 v2, v2, v43
	v_add_f32_e32 v3, v3, v44
	v_mul_f32_e32 v12, v63, v93
	ds_store_b64 v23, v[0:1] offset:160
	v_mul_f32_e32 v0, v68, v105
	ds_store_2addr_b64 v23, v[2:3], v[6:7] offset1:5
	v_sub_f32_e32 v2, v35, v14
	v_sub_f32_e32 v3, v31, v43
	v_add_f32_e32 v6, v14, v43
	v_fmac_f32_e32 v12, v64, v92
	v_mul_f32_e32 v38, v57, v95
	s_delay_alu instid0(VALU_DEP_4) | instskip(NEXT) | instid1(VALU_DEP_4)
	v_dual_sub_f32 v14, v32, v44 :: v_dual_add_f32 v7, v2, v3
	v_fma_f32 v2, -0.5, v6, v51
	s_delay_alu instid0(VALU_DEP_1) | instskip(SKIP_1) | instid1(VALU_DEP_2)
	v_dual_add_f32 v3, v30, v44 :: v_dual_fmamk_f32 v6, v15, 0xbf737871, v2
	v_fmac_f32_e32 v2, 0x3f737871, v15
	v_fma_f32 v3, -0.5, v3, v52
	v_add_f32_e32 v15, v54, v12
	v_fmac_f32_e32 v38, v58, v94
	v_fmac_f32_e32 v6, 0x3f167918, v13
	s_delay_alu instid0(VALU_DEP_2) | instskip(SKIP_1) | instid1(VALU_DEP_3)
	v_dual_fmac_f32 v2, 0xbf167918, v13 :: v_dual_sub_f32 v13, v38, v11
	v_sub_f32_e32 v10, v36, v30
	v_fmac_f32_e32 v6, 0x3e9e377a, v7
	s_delay_alu instid0(VALU_DEP_3) | instskip(SKIP_1) | instid1(VALU_DEP_4)
	v_fmac_f32_e32 v2, 0x3e9e377a, v7
	v_fmamk_f32 v7, v19, 0x3f737871, v3
	v_dual_fmac_f32 v3, 0xbf737871, v19 :: v_dual_add_f32 v10, v10, v14
	s_delay_alu instid0(VALU_DEP_2) | instskip(NEXT) | instid1(VALU_DEP_2)
	v_fmac_f32_e32 v7, 0xbf167918, v16
	v_fmac_f32_e32 v3, 0x3f167918, v16
	s_delay_alu instid0(VALU_DEP_2) | instskip(NEXT) | instid1(VALU_DEP_2)
	v_fmac_f32_e32 v7, 0x3e9e377a, v10
	v_fmac_f32_e32 v3, 0x3e9e377a, v10
	ds_store_2addr_b64 v23, v[6:7], v[2:3] offset0:10 offset1:15
	v_fma_f32 v6, v67, v104, -v0
	v_mul_f32_e32 v0, v64, v93
	s_delay_alu instid0(VALU_DEP_2) | instskip(NEXT) | instid1(VALU_DEP_2)
	v_sub_f32_e32 v2, v6, v45
	v_fma_f32 v7, v63, v92, -v0
	v_add_f32_e32 v0, v37, v6
	v_sub_f32_e32 v19, v37, v6
	s_delay_alu instid0(VALU_DEP_3) | instskip(NEXT) | instid1(VALU_DEP_3)
	v_dual_add_f32 v1, v7, v45 :: v_dual_add_f32 v10, v53, v7
	v_fma_f32 v0, -0.5, v0, v53
	v_dual_sub_f32 v23, v7, v45 :: v_dual_fmac_f32 v46, v62, v106
	s_delay_alu instid0(VALU_DEP_3) | instskip(SKIP_1) | instid1(VALU_DEP_3)
	v_fma_f32 v53, -0.5, v1, v53
	v_sub_f32_e32 v1, v37, v7
	v_dual_sub_f32 v7, v7, v37 :: v_dual_sub_f32 v14, v12, v46
	v_sub_f32_e32 v16, v11, v46
	s_delay_alu instid0(VALU_DEP_3) | instskip(SKIP_2) | instid1(VALU_DEP_2)
	v_add_f32_e32 v3, v1, v2
	v_fmamk_f32 v2, v13, 0xbf737871, v53
	v_fmac_f32_e32 v53, 0x3f737871, v13
	v_fmac_f32_e32 v2, 0x3f167918, v14
	s_delay_alu instid0(VALU_DEP_2) | instskip(NEXT) | instid1(VALU_DEP_2)
	v_fmac_f32_e32 v53, 0xbf167918, v14
	v_fmac_f32_e32 v2, 0x3e9e377a, v3
	s_delay_alu instid0(VALU_DEP_2) | instskip(SKIP_2) | instid1(VALU_DEP_2)
	v_fmac_f32_e32 v53, 0x3e9e377a, v3
	v_add_f32_e32 v1, v38, v11
	v_add_f32_e32 v3, v12, v46
	v_fma_f32 v1, -0.5, v1, v54
	s_delay_alu instid0(VALU_DEP_2) | instskip(NEXT) | instid1(VALU_DEP_1)
	v_dual_fmac_f32 v54, -0.5, v3 :: v_dual_sub_f32 v3, v38, v12
	v_add_f32_e32 v16, v3, v16
	s_delay_alu instid0(VALU_DEP_2) | instskip(SKIP_1) | instid1(VALU_DEP_2)
	v_fmamk_f32 v3, v19, 0x3f737871, v54
	v_fmac_f32_e32 v54, 0xbf737871, v19
	v_fmac_f32_e32 v3, 0xbf167918, v23
	s_delay_alu instid0(VALU_DEP_2) | instskip(NEXT) | instid1(VALU_DEP_2)
	v_fmac_f32_e32 v54, 0x3f167918, v23
	v_fmac_f32_e32 v3, 0x3e9e377a, v16
	s_delay_alu instid0(VALU_DEP_2) | instskip(SKIP_1) | instid1(VALU_DEP_1)
	v_fmac_f32_e32 v54, 0x3e9e377a, v16
	v_and_b32_e32 v16, 0xffff, v17
	v_dual_mul_f32 v17, v65, v97 :: v_dual_lshlrev_b32 v16, 3, v16
	s_delay_alu instid0(VALU_DEP_1) | instskip(SKIP_3) | instid1(VALU_DEP_2)
	v_fmac_f32_e32 v17, v66, v96
	ds_store_2addr_b64 v16, v[2:3], v[53:54] offset0:10 offset1:15
	v_mul_f32_e32 v2, v66, v97
	v_dual_mov_b32 v28, v16 :: v_dual_add_f32 v3, v15, v38
	v_fma_f32 v16, v65, v96, -v2
	v_mul_f32_e32 v2, v34, v99
	s_delay_alu instid0(VALU_DEP_3) | instskip(SKIP_1) | instid1(VALU_DEP_3)
	v_add_f32_e32 v3, v3, v11
	v_sub_f32_e32 v11, v46, v11
	v_fma_f32 v24, v33, v98, -v2
	s_delay_alu instid0(VALU_DEP_3) | instskip(NEXT) | instid1(VALU_DEP_1)
	v_dual_mul_f32 v2, v70, v109 :: v_dual_add_f32 v3, v3, v46
	v_fma_f32 v26, v69, v108, -v2
	v_add_f32_e32 v2, v10, v37
	v_sub_f32_e32 v10, v12, v38
	s_delay_alu instid0(VALU_DEP_2) | instskip(SKIP_1) | instid1(VALU_DEP_3)
	v_add_f32_e32 v2, v2, v6
	v_sub_f32_e32 v6, v45, v6
	v_add_f32_e32 v10, v10, v11
	s_delay_alu instid0(VALU_DEP_3) | instskip(NEXT) | instid1(VALU_DEP_3)
	v_add_f32_e32 v2, v2, v45
	v_add_f32_e32 v12, v7, v6
	v_fmamk_f32 v6, v14, 0x3f737871, v0
	v_dual_fmamk_f32 v7, v23, 0xbf737871, v1 :: v_dual_fmac_f32 v0, 0xbf737871, v14
	v_dual_fmac_f32 v1, 0x3f737871, v23 :: v_dual_sub_f32 v14, v24, v26
	s_delay_alu instid0(VALU_DEP_3) | instskip(NEXT) | instid1(VALU_DEP_3)
	v_fmac_f32_e32 v6, 0x3f167918, v13
	v_dual_fmac_f32 v7, 0xbf167918, v19 :: v_dual_fmac_f32 v0, 0xbf167918, v13
	s_delay_alu instid0(VALU_DEP_3) | instskip(SKIP_1) | instid1(VALU_DEP_3)
	v_fmac_f32_e32 v1, 0x3f167918, v19
	v_mad_u16 v13, v18, 25, v71
	v_dual_fmac_f32 v6, 0x3e9e377a, v12 :: v_dual_fmac_f32 v7, 0x3e9e377a, v10
	s_delay_alu instid0(VALU_DEP_3)
	v_dual_fmac_f32 v0, 0x3e9e377a, v12 :: v_dual_fmac_f32 v1, 0x3e9e377a, v10
	v_sub_f32_e32 v10, v25, v27
	ds_store_2addr_b64 v28, v[2:3], v[6:7] offset1:5
	v_mul_f32_e32 v2, v9, v111
	v_mul_f32_e32 v7, v8, v111
	ds_store_b64 v28, v[0:1] offset:160
	v_add_f32_e32 v0, v24, v26
	v_fma_f32 v6, v8, v110, -v2
	v_dual_fmac_f32 v7, v9, v110 :: v_dual_sub_f32 v2, v24, v16
	v_add_f32_e32 v8, v4, v16
	s_delay_alu instid0(VALU_DEP_4) | instskip(NEXT) | instid1(VALU_DEP_4)
	v_fma_f32 v0, -0.5, v0, v4
	v_add_f32_e32 v1, v16, v6
	v_sub_f32_e32 v3, v26, v6
	v_add_f32_e32 v9, v5, v17
	v_sub_f32_e32 v11, v17, v7
	v_sub_f32_e32 v12, v27, v7
	v_fma_f32 v4, -0.5, v1, v4
	v_add_f32_e32 v1, v25, v27
	v_add_f32_e32 v3, v2, v3
	v_dual_add_f32 v2, v17, v7 :: v_dual_sub_f32 v15, v16, v6
	s_delay_alu instid0(VALU_DEP_3) | instskip(NEXT) | instid1(VALU_DEP_2)
	v_fma_f32 v1, -0.5, v1, v5
	v_dual_fmac_f32 v5, -0.5, v2 :: v_dual_fmamk_f32 v2, v10, 0xbf737871, v4
	v_fmac_f32_e32 v4, 0x3f737871, v10
	s_delay_alu instid0(VALU_DEP_2) | instskip(NEXT) | instid1(VALU_DEP_2)
	v_fmac_f32_e32 v2, 0x3f167918, v11
	v_fmac_f32_e32 v4, 0xbf167918, v11
	s_delay_alu instid0(VALU_DEP_2) | instskip(NEXT) | instid1(VALU_DEP_2)
	v_fmac_f32_e32 v2, 0x3e9e377a, v3
	v_dual_fmac_f32 v4, 0x3e9e377a, v3 :: v_dual_sub_f32 v3, v25, v17
	s_delay_alu instid0(VALU_DEP_1) | instskip(SKIP_1) | instid1(VALU_DEP_2)
	v_dual_add_f32 v12, v3, v12 :: v_dual_fmamk_f32 v3, v14, 0x3f737871, v5
	v_fmac_f32_e32 v5, 0xbf737871, v14
	v_fmac_f32_e32 v3, 0xbf167918, v15
	s_delay_alu instid0(VALU_DEP_2) | instskip(NEXT) | instid1(VALU_DEP_2)
	v_fmac_f32_e32 v5, 0x3f167918, v15
	v_fmac_f32_e32 v3, 0x3e9e377a, v12
	s_delay_alu instid0(VALU_DEP_2) | instskip(SKIP_1) | instid1(VALU_DEP_1)
	v_fmac_f32_e32 v5, 0x3e9e377a, v12
	v_and_b32_e32 v12, 0xffff, v13
	v_lshlrev_b32_e32 v12, 3, v12
	s_clause 0x1
	scratch_store_b32 off, v28, off offset:208
	scratch_store_b32 off, v12, off offset:212
	ds_store_2addr_b64 v12, v[2:3], v[4:5] offset0:10 offset1:15
	v_dual_add_f32 v2, v8, v24 :: v_dual_add_f32 v3, v9, v25
	v_dual_sub_f32 v4, v16, v24 :: v_dual_sub_f32 v5, v17, v25
	v_sub_f32_e32 v8, v6, v26
	s_delay_alu instid0(VALU_DEP_3) | instskip(NEXT) | instid1(VALU_DEP_1)
	v_dual_add_f32 v2, v2, v26 :: v_dual_add_f32 v3, v3, v27
	v_add_f32_e32 v2, v2, v6
	v_sub_f32_e32 v6, v7, v27
	s_delay_alu instid0(VALU_DEP_3) | instskip(SKIP_2) | instid1(VALU_DEP_4)
	v_add_f32_e32 v3, v3, v7
	v_dual_add_f32 v7, v4, v8 :: v_dual_fmamk_f32 v4, v11, 0x3f737871, v0
	v_fmac_f32_e32 v0, 0xbf737871, v11
	v_dual_add_f32 v6, v5, v6 :: v_dual_fmamk_f32 v5, v15, 0xbf737871, v1
	v_fmac_f32_e32 v1, 0x3f737871, v15
	s_delay_alu instid0(VALU_DEP_4) | instskip(NEXT) | instid1(VALU_DEP_4)
	v_fmac_f32_e32 v4, 0x3f167918, v10
	v_fmac_f32_e32 v0, 0xbf167918, v10
	s_delay_alu instid0(VALU_DEP_4) | instskip(NEXT) | instid1(VALU_DEP_4)
	v_fmac_f32_e32 v5, 0xbf167918, v14
	v_fmac_f32_e32 v1, 0x3f167918, v14
	s_delay_alu instid0(VALU_DEP_4) | instskip(NEXT) | instid1(VALU_DEP_3)
	v_fmac_f32_e32 v4, 0x3e9e377a, v7
	v_dual_fmac_f32 v0, 0x3e9e377a, v7 :: v_dual_fmac_f32 v5, 0x3e9e377a, v6
	s_delay_alu instid0(VALU_DEP_3)
	v_fmac_f32_e32 v1, 0x3e9e377a, v6
	ds_store_2addr_b64 v12, v[2:3], v[4:5] offset1:5
	ds_store_b64 v12, v[0:1] offset:160
	v_mul_lo_u16 v0, v22, 41
	s_waitcnt lgkmcnt(0)
	s_waitcnt_vscnt null, 0x0
	s_barrier
	buffer_gl0_inv
	v_mul_lo_u16 v1, v21, 41
	v_lshrrev_b16 v33, 10, v0
	s_delay_alu instid0(VALU_DEP_2) | instskip(NEXT) | instid1(VALU_DEP_2)
	v_lshrrev_b16 v36, 10, v1
	v_mul_lo_u16 v0, v33, 25
	s_delay_alu instid0(VALU_DEP_2) | instskip(NEXT) | instid1(VALU_DEP_2)
	v_mul_lo_u16 v1, v36, 25
	v_sub_nc_u16 v0, v20, v0
	s_delay_alu instid0(VALU_DEP_2) | instskip(NEXT) | instid1(VALU_DEP_2)
	v_sub_nc_u16 v1, v152, v1
	v_and_b32_e32 v32, 0xff, v0
	s_delay_alu instid0(VALU_DEP_2) | instskip(NEXT) | instid1(VALU_DEP_2)
	v_and_b32_e32 v37, 0xff, v1
	v_lshlrev_b32_e32 v0, 5, v32
	s_clause 0x1
	global_load_b128 v[237:240], v0, s[10:11] offset:160
	global_load_b128 v[205:208], v0, s[10:11] offset:176
	ds_load_2addr_b64 v[47:50], v245 offset0:98 offset1:223
	s_waitcnt vmcnt(1) lgkmcnt(0)
	v_mul_f32_e32 v0, v48, v240
	v_mul_f32_e32 v45, v47, v240
	s_delay_alu instid0(VALU_DEP_2)
	v_fma_f32 v46, v47, v239, -v0
	v_lshlrev_b32_e32 v0, 5, v37
	s_clause 0x1
	global_load_b128 v[213:216], v0, s[10:11] offset:160
	global_load_b128 v[201:204], v0, s[10:11] offset:176
	s_waitcnt vmcnt(1)
	v_dual_fmac_f32 v45, v48, v239 :: v_dual_mul_f32 v0, v50, v216
	v_mul_f32_e32 v38, v49, v216
	s_delay_alu instid0(VALU_DEP_2) | instskip(NEXT) | instid1(VALU_DEP_2)
	v_fma_f32 v39, v49, v215, -v0
	v_fmac_f32_e32 v38, v50, v215
	ds_load_2addr_b64 v[49:52], v235 offset0:68 offset1:193
	s_waitcnt lgkmcnt(0)
	v_mul_f32_e32 v0, v50, v208
	v_mul_f32_e32 v47, v49, v208
	s_waitcnt vmcnt(0)
	v_mul_f32_e32 v43, v51, v204
	s_delay_alu instid0(VALU_DEP_3) | instskip(NEXT) | instid1(VALU_DEP_3)
	v_fma_f32 v48, v49, v207, -v0
	v_dual_mul_f32 v0, v52, v204 :: v_dual_fmac_f32 v47, v50, v207
	s_delay_alu instid0(VALU_DEP_3) | instskip(NEXT) | instid1(VALU_DEP_2)
	v_fmac_f32_e32 v43, v52, v203
	v_fma_f32 v44, v51, v203, -v0
	v_and_b32_e32 v0, 0xffff, v33
	ds_load_2addr_b64 v[49:52], v234 offset0:86 offset1:211
	v_mul_u32_u24_e32 v0, 0x7d, v0
	s_delay_alu instid0(VALU_DEP_1) | instskip(SKIP_3) | instid1(VALU_DEP_1)
	v_add_lshl_u32 v26, v0, v32, 3
	v_mul_u32_u24_e32 v0, 0x47af, v42
	ds_load_2addr_b64 v[32:35], v249 offset0:116 offset1:241
	v_lshrrev_b32_e32 v0, 16, v0
	v_sub_nc_u16 v1, v153, v0
	s_waitcnt lgkmcnt(1)
	v_mul_f32_e32 v15, v51, v206
	s_delay_alu instid0(VALU_DEP_2) | instskip(NEXT) | instid1(VALU_DEP_2)
	v_lshrrev_b16 v1, 1, v1
	v_fmac_f32_e32 v15, v52, v205
	s_delay_alu instid0(VALU_DEP_2) | instskip(SKIP_2) | instid1(VALU_DEP_3)
	v_add_nc_u16 v4, v1, v0
	v_mul_u32_u24_e32 v0, 0x47af, v41
	s_waitcnt lgkmcnt(0)
	v_dual_mul_f32 v16, v34, v238 :: v_dual_sub_f32 v3, v47, v15
	v_sub_f32_e32 v24, v45, v15
	v_lshrrev_b16 v18, 4, v4
	v_lshrrev_b32_e32 v0, 16, v0
	s_delay_alu instid0(VALU_DEP_4) | instskip(NEXT) | instid1(VALU_DEP_3)
	v_fmac_f32_e32 v16, v35, v237
	v_mul_lo_u16 v4, v18, 25
	s_delay_alu instid0(VALU_DEP_3) | instskip(NEXT) | instid1(VALU_DEP_3)
	v_sub_nc_u16 v1, v150, v0
	v_sub_f32_e32 v2, v16, v45
	v_sub_f32_e32 v22, v16, v47
	s_delay_alu instid0(VALU_DEP_4) | instskip(NEXT) | instid1(VALU_DEP_4)
	v_sub_nc_u16 v20, v153, v4
	v_lshrrev_b16 v1, 1, v1
	s_delay_alu instid0(VALU_DEP_4) | instskip(NEXT) | instid1(VALU_DEP_2)
	v_add_f32_e32 v17, v2, v3
	v_add_nc_u16 v5, v1, v0
	v_mul_u32_u24_e32 v0, 0x47af, v40
	s_delay_alu instid0(VALU_DEP_2) | instskip(NEXT) | instid1(VALU_DEP_2)
	v_lshrrev_b16 v19, 4, v5
	v_lshrrev_b32_e32 v0, 16, v0
	s_delay_alu instid0(VALU_DEP_2) | instskip(NEXT) | instid1(VALU_DEP_2)
	v_mul_lo_u16 v4, v19, 25
	v_sub_nc_u16 v1, v151, v0
	s_delay_alu instid0(VALU_DEP_2) | instskip(NEXT) | instid1(VALU_DEP_2)
	v_sub_nc_u16 v21, v150, v4
	v_lshrrev_b16 v1, 1, v1
	s_delay_alu instid0(VALU_DEP_2) | instskip(NEXT) | instid1(VALU_DEP_2)
	v_lshlrev_b16 v5, 5, v21
	v_add_nc_u16 v6, v1, v0
	v_mul_f32_e32 v0, v35, v238
	s_delay_alu instid0(VALU_DEP_1) | instskip(NEXT) | instid1(VALU_DEP_3)
	v_fma_f32 v12, v34, v237, -v0
	v_lshrrev_b16 v34, 4, v6
	v_and_b32_e32 v6, 0xffff, v5
	v_mul_f32_e32 v0, v52, v206
	s_delay_alu instid0(VALU_DEP_4) | instskip(NEXT) | instid1(VALU_DEP_4)
	v_sub_f32_e32 v23, v12, v48
	v_mul_lo_u16 v4, v34, 25
	s_delay_alu instid0(VALU_DEP_3)
	v_fma_f32 v13, v51, v205, -v0
	ds_load_2addr_b64 v[51:54], v224 offset1:125
	v_sub_f32_e32 v0, v12, v46
	v_sub_nc_u16 v35, v151, v4
	v_lshlrev_b16 v4, 5, v20
	v_sub_f32_e32 v1, v48, v13
	v_sub_f32_e32 v25, v46, v13
	s_delay_alu instid0(VALU_DEP_4) | instskip(NEXT) | instid1(VALU_DEP_4)
	v_lshlrev_b16 v5, 5, v35
	v_and_b32_e32 v4, 0xffff, v4
	s_delay_alu instid0(VALU_DEP_4) | instskip(SKIP_1) | instid1(VALU_DEP_4)
	v_dual_add_f32 v14, v0, v1 :: v_dual_add_f32 v1, v45, v15
	v_add_f32_e32 v0, v46, v13
	v_and_b32_e32 v10, 0xffff, v5
	s_delay_alu instid0(VALU_DEP_4) | instskip(NEXT) | instid1(VALU_DEP_1)
	v_add_co_u32 v4, s2, s10, v4
	v_add_co_ci_u32_e64 v5, null, s11, 0, s2
	v_add_co_u32 v6, s2, s10, v6
	s_delay_alu instid0(VALU_DEP_1) | instskip(SKIP_1) | instid1(VALU_DEP_1)
	v_add_co_ci_u32_e64 v7, null, s11, 0, s2
	v_add_co_u32 v10, s2, s10, v10
	v_add_co_ci_u32_e64 v11, null, s11, 0, s2
	s_clause 0x5
	global_load_b128 v[112:115], v[4:5], off offset:160
	global_load_b128 v[124:127], v[4:5], off offset:176
	;; [unrolled: 1-line block ×6, first 2 shown]
	ds_load_b64 v[4:5], v224 offset:24000
	ds_load_2addr_b64 v[55:58], v246 offset0:110 offset1:235
	ds_load_2addr_b64 v[59:62], v221 offset0:80 offset1:205
	;; [unrolled: 1-line block ×6, first 2 shown]
	s_waitcnt lgkmcnt(7)
	v_fma_f32 v1, -0.5, v1, v52
	v_fma_f32 v0, -0.5, v0, v51
	v_add_f32_e32 v2, v51, v12
	v_add_f32_e32 v3, v52, v16
	ds_load_2addr_b64 v[79:82], v80 offset0:74 offset1:199
	v_fmamk_f32 v9, v23, 0xbf737871, v1
	v_dual_fmac_f32 v1, 0x3f737871, v23 :: v_dual_add_f32 v2, v2, v46
	v_add_f32_e32 v3, v3, v45
	s_waitcnt vmcnt(0) lgkmcnt(0)
	s_delay_alu instid0(VALU_DEP_3) | instskip(NEXT) | instid1(VALU_DEP_3)
	v_fmac_f32_e32 v9, 0xbf167918, v25
	v_fmac_f32_e32 v1, 0x3f167918, v25
	s_delay_alu instid0(VALU_DEP_3) | instskip(SKIP_1) | instid1(VALU_DEP_3)
	v_dual_add_f32 v2, v2, v13 :: v_dual_add_f32 v3, v3, v15
	s_barrier
	v_fmac_f32_e32 v9, 0x3e9e377a, v17
	s_delay_alu instid0(VALU_DEP_3)
	v_fmac_f32_e32 v1, 0x3e9e377a, v17
	buffer_gl0_inv
	v_dual_add_f32 v3, v3, v47 :: v_dual_add_f32 v6, v12, v48
	v_sub_f32_e32 v7, v45, v16
	v_mul_f32_e32 v17, v57, v113
	v_mul_f32_e32 v29, v71, v127
	;; [unrolled: 1-line block ×4, first 2 shown]
	s_delay_alu instid0(VALU_DEP_4) | instskip(NEXT) | instid1(VALU_DEP_4)
	v_fmac_f32_e32 v17, v58, v112
	v_dual_fmac_f32 v29, v72, v126 :: v_dual_fmamk_f32 v8, v22, 0x3f737871, v0
	v_add_f32_e32 v2, v2, v48
	v_fmac_f32_e32 v27, v70, v118
	v_fmac_f32_e32 v0, 0xbf737871, v22
	s_delay_alu instid0(VALU_DEP_4) | instskip(NEXT) | instid1(VALU_DEP_2)
	v_dual_fmac_f32 v31, v74, v130 :: v_dual_fmac_f32 v8, 0x3f167918, v24
	v_fmac_f32_e32 v0, 0xbf167918, v24
	s_delay_alu instid0(VALU_DEP_2) | instskip(NEXT) | instid1(VALU_DEP_2)
	v_fmac_f32_e32 v8, 0x3e9e377a, v14
	v_fmac_f32_e32 v0, 0x3e9e377a, v14
	ds_store_2addr_b64 v26, v[2:3], v[8:9] offset1:25
	v_sub_f32_e32 v2, v46, v12
	v_dual_sub_f32 v3, v13, v48 :: v_dual_add_f32 v8, v16, v47
	v_sub_f32_e32 v9, v15, v47
	ds_store_b64 v26, v[0:1] offset:800
	v_mul_f32_e32 v0, v60, v202
	v_add_f32_e32 v10, v2, v3
	v_fma_f32 v2, -0.5, v6, v51
	v_fma_f32 v3, -0.5, v8, v52
	v_add_f32_e32 v8, v7, v9
	s_delay_alu instid0(VALU_DEP_3) | instskip(NEXT) | instid1(VALU_DEP_3)
	v_dual_mul_f32 v9, v59, v202 :: v_dual_fmamk_f32 v6, v24, 0xbf737871, v2
	v_dual_fmac_f32 v2, 0x3f737871, v24 :: v_dual_fmamk_f32 v7, v25, 0x3f737871, v3
	v_fmac_f32_e32 v3, 0xbf737871, v25
	s_delay_alu instid0(VALU_DEP_3) | instskip(NEXT) | instid1(VALU_DEP_3)
	v_dual_fmac_f32 v9, v60, v201 :: v_dual_fmac_f32 v6, 0x3f167918, v22
	v_dual_fmac_f32 v2, 0xbf167918, v22 :: v_dual_fmac_f32 v7, 0xbf167918, v23
	s_delay_alu instid0(VALU_DEP_3) | instskip(NEXT) | instid1(VALU_DEP_3)
	v_fmac_f32_e32 v3, 0x3f167918, v23
	v_dual_sub_f32 v11, v38, v9 :: v_dual_fmac_f32 v6, 0x3e9e377a, v10
	s_delay_alu instid0(VALU_DEP_3) | instskip(NEXT) | instid1(VALU_DEP_3)
	v_dual_fmac_f32 v2, 0x3e9e377a, v10 :: v_dual_fmac_f32 v7, 0x3e9e377a, v8
	v_dual_fmac_f32 v3, 0x3e9e377a, v8 :: v_dual_mul_f32 v10, v55, v214
	v_sub_f32_e32 v14, v9, v43
	v_mul_f32_e32 v23, v61, v125
	v_mul_f32_e32 v25, v67, v115
	ds_store_2addr_b64 v26, v[6:7], v[2:3] offset0:50 offset1:75
	v_fma_f32 v6, v59, v201, -v0
	v_mul_f32_e32 v0, v56, v214
	v_dual_fmac_f32 v10, v56, v213 :: v_dual_fmac_f32 v23, v62, v124
	s_delay_alu instid0(VALU_DEP_3) | instskip(NEXT) | instid1(VALU_DEP_3)
	v_dual_fmac_f32 v25, v68, v114 :: v_dual_sub_f32 v2, v6, v44
	v_fma_f32 v7, v55, v213, -v0
	v_add_f32_e32 v0, v39, v6
	s_delay_alu instid0(VALU_DEP_4)
	v_sub_f32_e32 v12, v10, v43
	v_add_f32_e32 v13, v54, v10
	v_sub_f32_e32 v15, v39, v6
	v_dual_add_f32 v1, v7, v44 :: v_dual_add_f32 v8, v53, v7
	v_fma_f32 v0, -0.5, v0, v53
	v_sub_f32_e32 v16, v7, v44
	v_mov_b32_e32 v55, v171
	s_delay_alu instid0(VALU_DEP_4) | instskip(SKIP_2) | instid1(VALU_DEP_4)
	v_fma_f32 v53, -0.5, v1, v53
	v_sub_f32_e32 v1, v39, v7
	v_sub_f32_e32 v7, v7, v39
	v_mov_b32_e32 v255, v55
	s_delay_alu instid0(VALU_DEP_3) | instskip(SKIP_1) | instid1(VALU_DEP_2)
	v_dual_add_f32 v3, v1, v2 :: v_dual_fmamk_f32 v2, v11, 0xbf737871, v53
	v_fmac_f32_e32 v53, 0x3f737871, v11
	v_dual_add_f32 v1, v38, v9 :: v_dual_fmac_f32 v2, 0x3f167918, v12
	s_delay_alu instid0(VALU_DEP_2) | instskip(NEXT) | instid1(VALU_DEP_2)
	v_fmac_f32_e32 v53, 0xbf167918, v12
	v_fma_f32 v1, -0.5, v1, v54
	s_delay_alu instid0(VALU_DEP_3) | instskip(NEXT) | instid1(VALU_DEP_3)
	v_fmac_f32_e32 v2, 0x3e9e377a, v3
	v_fmac_f32_e32 v53, 0x3e9e377a, v3
	v_add_f32_e32 v3, v10, v43
	s_delay_alu instid0(VALU_DEP_1) | instskip(NEXT) | instid1(VALU_DEP_1)
	v_dual_fmac_f32 v54, -0.5, v3 :: v_dual_sub_f32 v3, v38, v10
	v_add_f32_e32 v14, v3, v14
	s_delay_alu instid0(VALU_DEP_2) | instskip(SKIP_1) | instid1(VALU_DEP_2)
	v_fmamk_f32 v3, v15, 0x3f737871, v54
	v_fmac_f32_e32 v54, 0xbf737871, v15
	v_fmac_f32_e32 v3, 0xbf167918, v16
	s_delay_alu instid0(VALU_DEP_2) | instskip(NEXT) | instid1(VALU_DEP_2)
	v_fmac_f32_e32 v54, 0x3f167918, v16
	v_fmac_f32_e32 v3, 0x3e9e377a, v14
	s_delay_alu instid0(VALU_DEP_2) | instskip(SKIP_1) | instid1(VALU_DEP_1)
	v_fmac_f32_e32 v54, 0x3e9e377a, v14
	v_and_b32_e32 v14, 0xffff, v36
	v_mul_u32_u24_e32 v14, 0x7d, v14
	s_delay_alu instid0(VALU_DEP_1)
	v_add_lshl_u32 v14, v14, v37, 3
	ds_store_2addr_b64 v14, v[2:3], v[53:54] offset0:50 offset1:75
	v_mul_f32_e32 v2, v58, v113
	v_mov_b32_e32 v36, v14
	scratch_store_b32 off, v26, off offset:220 ; 4-byte Folded Spill
	v_add_f32_e32 v3, v13, v38
	v_fma_f32 v14, v57, v112, -v2
	v_mul_f32_e32 v2, v62, v125
	s_delay_alu instid0(VALU_DEP_3) | instskip(SKIP_1) | instid1(VALU_DEP_3)
	v_add_f32_e32 v3, v3, v9
	v_sub_f32_e32 v9, v43, v9
	v_fma_f32 v22, v61, v124, -v2
	v_mul_f32_e32 v2, v68, v115
	s_delay_alu instid0(VALU_DEP_4) | instskip(NEXT) | instid1(VALU_DEP_2)
	v_add_f32_e32 v3, v3, v43
	v_fma_f32 v24, v67, v114, -v2
	v_mul_f32_e32 v2, v70, v119
	s_delay_alu instid0(VALU_DEP_1) | instskip(SKIP_1) | instid1(VALU_DEP_1)
	v_fma_f32 v26, v69, v118, -v2
	v_mul_f32_e32 v2, v72, v127
	v_fma_f32 v28, v71, v126, -v2
	v_mul_f32_e32 v2, v74, v131
	s_delay_alu instid0(VALU_DEP_2) | instskip(NEXT) | instid1(VALU_DEP_2)
	v_sub_f32_e32 v13, v14, v28
	v_fma_f32 v30, v73, v130, -v2
	v_add_f32_e32 v2, v8, v39
	v_sub_f32_e32 v8, v10, v38
	s_delay_alu instid0(VALU_DEP_2) | instskip(SKIP_1) | instid1(VALU_DEP_3)
	v_add_f32_e32 v2, v2, v6
	v_sub_f32_e32 v6, v44, v6
	v_add_f32_e32 v8, v8, v9
	s_delay_alu instid0(VALU_DEP_3) | instskip(NEXT) | instid1(VALU_DEP_3)
	v_add_f32_e32 v2, v2, v44
	v_add_f32_e32 v10, v7, v6
	v_fmamk_f32 v6, v12, 0x3f737871, v0
	v_dual_fmamk_f32 v7, v16, 0xbf737871, v1 :: v_dual_fmac_f32 v0, 0xbf737871, v12
	v_dual_fmac_f32 v1, 0x3f737871, v16 :: v_dual_sub_f32 v12, v25, v23
	s_delay_alu instid0(VALU_DEP_3) | instskip(NEXT) | instid1(VALU_DEP_3)
	v_fmac_f32_e32 v6, 0x3f167918, v11
	v_fmac_f32_e32 v7, 0xbf167918, v15
	s_delay_alu instid0(VALU_DEP_4) | instskip(NEXT) | instid1(VALU_DEP_4)
	v_fmac_f32_e32 v0, 0xbf167918, v11
	v_fmac_f32_e32 v1, 0x3f167918, v15
	s_delay_alu instid0(VALU_DEP_4) | instskip(NEXT) | instid1(VALU_DEP_3)
	v_dual_sub_f32 v11, v17, v29 :: v_dual_fmac_f32 v6, 0x3e9e377a, v10
	v_dual_fmac_f32 v7, 0x3e9e377a, v8 :: v_dual_fmac_f32 v0, 0x3e9e377a, v10
	s_delay_alu instid0(VALU_DEP_3)
	v_fmac_f32_e32 v1, 0x3e9e377a, v8
	v_mad_u16 v10, 0x7d, v18, v20
	v_sub_f32_e32 v15, v24, v22
	ds_store_2addr_b64 v36, v[2:3], v[6:7] offset1:25
	v_add_f32_e32 v2, v63, v14
	ds_store_b64 v36, v[0:1] offset:800
	v_dual_sub_f32 v0, v14, v24 :: v_dual_sub_f32 v1, v28, v22
	v_add_f32_e32 v3, v64, v17
	v_sub_f32_e32 v6, v17, v25
	v_dual_sub_f32 v7, v29, v23 :: v_dual_add_f32 v2, v2, v24
	s_delay_alu instid0(VALU_DEP_4) | instskip(SKIP_2) | instid1(VALU_DEP_4)
	v_add_f32_e32 v8, v0, v1
	v_dual_add_f32 v0, v24, v22 :: v_dual_add_f32 v1, v25, v23
	v_add_f32_e32 v3, v3, v25
	v_add_f32_e32 v9, v6, v7
	;; [unrolled: 1-line block ×3, first 2 shown]
	s_delay_alu instid0(VALU_DEP_4) | instskip(SKIP_2) | instid1(VALU_DEP_4)
	v_fma_f32 v0, -0.5, v0, v63
	v_fma_f32 v1, -0.5, v1, v64
	v_dual_add_f32 v3, v3, v23 :: v_dual_and_b32 v10, 0xffff, v10
	v_add_f32_e32 v2, v2, v28
	s_delay_alu instid0(VALU_DEP_4) | instskip(NEXT) | instid1(VALU_DEP_4)
	v_fmamk_f32 v6, v11, 0x3f737871, v0
	v_fmamk_f32 v7, v13, 0xbf737871, v1
	s_delay_alu instid0(VALU_DEP_4) | instskip(SKIP_1) | instid1(VALU_DEP_4)
	v_dual_add_f32 v3, v3, v29 :: v_dual_lshlrev_b32 v10, 3, v10
	v_fmac_f32_e32 v0, 0xbf737871, v11
	v_fmac_f32_e32 v6, 0x3f167918, v12
	s_delay_alu instid0(VALU_DEP_4) | instskip(NEXT) | instid1(VALU_DEP_4)
	v_fmac_f32_e32 v7, 0xbf167918, v15
	v_dual_fmac_f32 v1, 0x3f737871, v13 :: v_dual_mov_b32 v16, v10
	s_delay_alu instid0(VALU_DEP_4) | instskip(NEXT) | instid1(VALU_DEP_3)
	v_fmac_f32_e32 v0, 0xbf167918, v12
	v_dual_fmac_f32 v6, 0x3e9e377a, v8 :: v_dual_fmac_f32 v7, 0x3e9e377a, v9
	s_delay_alu instid0(VALU_DEP_3)
	v_fmac_f32_e32 v1, 0x3f167918, v15
	s_clause 0x1
	scratch_store_b32 off, v36, off offset:224
	scratch_store_b32 off, v16, off offset:228
	v_fmac_f32_e32 v0, 0x3e9e377a, v8
	ds_store_2addr_b64 v10, v[2:3], v[6:7] offset1:25
	v_dual_sub_f32 v2, v24, v14 :: v_dual_sub_f32 v3, v22, v28
	v_add_f32_e32 v6, v14, v28
	v_sub_f32_e32 v10, v25, v17
	v_sub_f32_e32 v14, v23, v29
	v_fmac_f32_e32 v1, 0x3e9e377a, v9
	v_add_f32_e32 v7, v2, v3
	v_fma_f32 v2, -0.5, v6, v63
	s_delay_alu instid0(VALU_DEP_4)
	v_dual_add_f32 v3, v17, v29 :: v_dual_add_f32 v10, v10, v14
	ds_store_b64 v16, v[0:1] offset:800
	v_mul_f32_e32 v0, v80, v129
	v_fmamk_f32 v6, v12, 0xbf737871, v2
	v_fmac_f32_e32 v2, 0x3f737871, v12
	v_fma_f32 v3, -0.5, v3, v64
	s_delay_alu instid0(VALU_DEP_3) | instskip(NEXT) | instid1(VALU_DEP_1)
	v_dual_mul_f32 v9, v79, v129 :: v_dual_fmac_f32 v6, 0x3f167918, v11
	v_dual_fmac_f32 v2, 0xbf167918, v11 :: v_dual_fmac_f32 v9, v80, v128
	s_delay_alu instid0(VALU_DEP_2) | instskip(NEXT) | instid1(VALU_DEP_2)
	v_fmac_f32_e32 v6, 0x3e9e377a, v7
	v_fmac_f32_e32 v2, 0x3e9e377a, v7
	v_fmamk_f32 v7, v15, 0x3f737871, v3
	v_fmac_f32_e32 v3, 0xbf737871, v15
	v_dual_sub_f32 v11, v27, v9 :: v_dual_sub_f32 v14, v9, v31
	v_mad_u16 v15, 0x7d, v19, v21
	s_delay_alu instid0(VALU_DEP_4) | instskip(NEXT) | instid1(VALU_DEP_4)
	v_fmac_f32_e32 v7, 0xbf167918, v13
	v_fmac_f32_e32 v3, 0x3f167918, v13
	v_mul_f32_e32 v19, v49, v123
	v_mul_f32_e32 v21, v81, v133
	s_delay_alu instid0(VALU_DEP_4) | instskip(NEXT) | instid1(VALU_DEP_4)
	v_fmac_f32_e32 v7, 0x3e9e377a, v10
	v_dual_fmac_f32 v3, 0x3e9e377a, v10 :: v_dual_mul_f32 v10, v75, v117
	s_delay_alu instid0(VALU_DEP_4) | instskip(NEXT) | instid1(VALU_DEP_4)
	v_fmac_f32_e32 v19, v50, v122
	v_fmac_f32_e32 v21, v82, v132
	ds_store_2addr_b64 v16, v[6:7], v[2:3] offset0:50 offset1:75
	v_fma_f32 v6, v79, v128, -v0
	v_mul_f32_e32 v0, v76, v117
	v_fmac_f32_e32 v10, v76, v116
	s_delay_alu instid0(VALU_DEP_3) | instskip(NEXT) | instid1(VALU_DEP_3)
	v_sub_f32_e32 v2, v6, v30
	v_fma_f32 v7, v75, v116, -v0
	v_add_f32_e32 v0, v26, v6
	s_delay_alu instid0(VALU_DEP_4)
	v_sub_f32_e32 v12, v10, v31
	v_add_f32_e32 v13, v66, v10
	v_sub_f32_e32 v16, v26, v6
	v_dual_add_f32 v1, v7, v30 :: v_dual_add_f32 v8, v65, v7
	v_fma_f32 v0, -0.5, v0, v65
	v_sub_f32_e32 v17, v7, v30
	s_delay_alu instid0(VALU_DEP_3) | instskip(SKIP_2) | instid1(VALU_DEP_2)
	v_fma_f32 v65, -0.5, v1, v65
	v_sub_f32_e32 v1, v26, v7
	v_sub_f32_e32 v7, v7, v26
	v_dual_add_f32 v3, v1, v2 :: v_dual_fmamk_f32 v2, v11, 0xbf737871, v65
	v_fmac_f32_e32 v65, 0x3f737871, v11
	s_delay_alu instid0(VALU_DEP_2) | instskip(NEXT) | instid1(VALU_DEP_2)
	v_dual_add_f32 v1, v27, v9 :: v_dual_fmac_f32 v2, 0x3f167918, v12
	v_fmac_f32_e32 v65, 0xbf167918, v12
	s_delay_alu instid0(VALU_DEP_2) | instskip(NEXT) | instid1(VALU_DEP_3)
	v_fma_f32 v1, -0.5, v1, v66
	v_fmac_f32_e32 v2, 0x3e9e377a, v3
	s_delay_alu instid0(VALU_DEP_3) | instskip(SKIP_1) | instid1(VALU_DEP_1)
	v_fmac_f32_e32 v65, 0x3e9e377a, v3
	v_add_f32_e32 v3, v10, v31
	v_dual_fmac_f32 v66, -0.5, v3 :: v_dual_sub_f32 v3, v27, v10
	s_delay_alu instid0(VALU_DEP_1) | instskip(SKIP_1) | instid1(VALU_DEP_2)
	v_dual_add_f32 v14, v3, v14 :: v_dual_fmamk_f32 v3, v16, 0x3f737871, v66
	v_fmac_f32_e32 v66, 0xbf737871, v16
	v_fmac_f32_e32 v3, 0xbf167918, v17
	s_delay_alu instid0(VALU_DEP_2) | instskip(NEXT) | instid1(VALU_DEP_2)
	v_fmac_f32_e32 v66, 0x3f167918, v17
	v_fmac_f32_e32 v3, 0x3e9e377a, v14
	s_delay_alu instid0(VALU_DEP_2) | instskip(SKIP_1) | instid1(VALU_DEP_1)
	v_fmac_f32_e32 v66, 0x3e9e377a, v14
	v_dual_mul_f32 v15, v77, v121 :: v_dual_and_b32 v14, 0xffff, v15
	v_dual_fmac_f32 v15, v78, v120 :: v_dual_lshlrev_b32 v22, 3, v14
	ds_store_2addr_b64 v22, v[2:3], v[65:66] offset0:50 offset1:75
	v_dual_mul_f32 v2, v78, v121 :: v_dual_add_f32 v3, v13, v27
	s_delay_alu instid0(VALU_DEP_1) | instskip(NEXT) | instid1(VALU_DEP_2)
	v_fma_f32 v14, v77, v120, -v2
	v_dual_mul_f32 v2, v50, v123 :: v_dual_add_f32 v3, v3, v9
	v_sub_f32_e32 v9, v31, v9
	s_delay_alu instid0(VALU_DEP_2) | instskip(NEXT) | instid1(VALU_DEP_3)
	v_fma_f32 v18, v49, v122, -v2
	v_dual_mul_f32 v2, v82, v133 :: v_dual_add_f32 v3, v3, v31
	s_delay_alu instid0(VALU_DEP_1) | instskip(SKIP_2) | instid1(VALU_DEP_2)
	v_fma_f32 v20, v81, v132, -v2
	v_add_f32_e32 v2, v8, v26
	v_sub_f32_e32 v8, v10, v27
	v_add_f32_e32 v2, v2, v6
	v_sub_f32_e32 v6, v30, v6
	s_delay_alu instid0(VALU_DEP_3) | instskip(NEXT) | instid1(VALU_DEP_3)
	v_add_f32_e32 v8, v8, v9
	v_add_f32_e32 v2, v2, v30
	s_delay_alu instid0(VALU_DEP_3) | instskip(SKIP_3) | instid1(VALU_DEP_3)
	v_add_f32_e32 v10, v7, v6
	v_fmamk_f32 v6, v12, 0x3f737871, v0
	v_dual_fmamk_f32 v7, v17, 0xbf737871, v1 :: v_dual_fmac_f32 v0, 0xbf737871, v12
	v_dual_fmac_f32 v1, 0x3f737871, v17 :: v_dual_sub_f32 v12, v18, v20
	v_fmac_f32_e32 v6, 0x3f167918, v11
	s_delay_alu instid0(VALU_DEP_3) | instskip(NEXT) | instid1(VALU_DEP_3)
	v_dual_fmac_f32 v7, 0xbf167918, v16 :: v_dual_fmac_f32 v0, 0xbf167918, v11
	v_fmac_f32_e32 v1, 0x3f167918, v16
	v_mad_u16 v11, 0x7d, v34, v35
	s_delay_alu instid0(VALU_DEP_3) | instskip(NEXT) | instid1(VALU_DEP_3)
	v_dual_fmac_f32 v6, 0x3e9e377a, v10 :: v_dual_fmac_f32 v7, 0x3e9e377a, v8
	v_dual_fmac_f32 v0, 0x3e9e377a, v10 :: v_dual_fmac_f32 v1, 0x3e9e377a, v8
	v_sub_f32_e32 v8, v19, v21
	ds_store_2addr_b64 v22, v[2:3], v[6:7] offset1:25
	v_mul_f32_e32 v2, v5, v135
	ds_store_b64 v22, v[0:1] offset:800
	v_dual_add_f32 v0, v18, v20 :: v_dual_add_f32 v7, v33, v15
	v_fma_f32 v6, v4, v134, -v2
	v_mul_f32_e32 v4, v4, v135
	v_sub_f32_e32 v2, v18, v14
	s_delay_alu instid0(VALU_DEP_4) | instskip(NEXT) | instid1(VALU_DEP_4)
	v_fma_f32 v0, -0.5, v0, v32
	v_add_f32_e32 v1, v14, v6
	s_delay_alu instid0(VALU_DEP_4)
	v_fmac_f32_e32 v4, v5, v134
	v_sub_f32_e32 v3, v20, v6
	v_add_f32_e32 v5, v32, v14
	v_sub_f32_e32 v13, v14, v6
	v_fma_f32 v32, -0.5, v1, v32
	v_add_f32_e32 v1, v19, v21
	v_dual_add_f32 v3, v2, v3 :: v_dual_add_f32 v2, v15, v4
	v_sub_f32_e32 v9, v15, v4
	v_sub_f32_e32 v10, v21, v4
	s_delay_alu instid0(VALU_DEP_4) | instskip(NEXT) | instid1(VALU_DEP_4)
	v_fma_f32 v1, -0.5, v1, v33
	v_dual_fmac_f32 v33, -0.5, v2 :: v_dual_fmamk_f32 v2, v8, 0xbf737871, v32
	v_fmac_f32_e32 v32, 0x3f737871, v8
	s_delay_alu instid0(VALU_DEP_2) | instskip(NEXT) | instid1(VALU_DEP_2)
	v_fmac_f32_e32 v2, 0x3f167918, v9
	v_fmac_f32_e32 v32, 0xbf167918, v9
	s_delay_alu instid0(VALU_DEP_2) | instskip(NEXT) | instid1(VALU_DEP_2)
	v_fmac_f32_e32 v2, 0x3e9e377a, v3
	v_fmac_f32_e32 v32, 0x3e9e377a, v3
	v_sub_f32_e32 v3, v19, v15
	s_delay_alu instid0(VALU_DEP_1) | instskip(SKIP_1) | instid1(VALU_DEP_2)
	v_dual_add_f32 v10, v3, v10 :: v_dual_fmamk_f32 v3, v12, 0x3f737871, v33
	v_fmac_f32_e32 v33, 0xbf737871, v12
	v_fmac_f32_e32 v3, 0xbf167918, v13
	s_delay_alu instid0(VALU_DEP_2) | instskip(NEXT) | instid1(VALU_DEP_2)
	v_fmac_f32_e32 v33, 0x3f167918, v13
	v_fmac_f32_e32 v3, 0x3e9e377a, v10
	s_delay_alu instid0(VALU_DEP_2) | instskip(SKIP_1) | instid1(VALU_DEP_1)
	v_fmac_f32_e32 v33, 0x3e9e377a, v10
	v_and_b32_e32 v10, 0xffff, v11
	v_lshlrev_b32_e32 v10, 3, v10
	ds_store_2addr_b64 v10, v[2:3], v[32:33] offset0:50 offset1:75
	v_dual_add_f32 v3, v7, v19 :: v_dual_add_f32 v2, v5, v18
	v_mov_b32_e32 v11, v10
	v_sub_f32_e32 v5, v14, v18
	v_sub_f32_e32 v7, v15, v19
	s_delay_alu instid0(VALU_DEP_4)
	v_dual_add_f32 v3, v3, v21 :: v_dual_add_f32 v2, v2, v20
	v_sub_f32_e32 v10, v6, v20
	s_clause 0x1
	scratch_store_b32 off, v22, off offset:236
	scratch_store_b32 off, v11, off offset:232
	v_dual_add_f32 v3, v3, v4 :: v_dual_sub_f32 v4, v4, v21
	v_add_f32_e32 v2, v2, v6
	v_add_f32_e32 v6, v5, v10
	v_fmamk_f32 v5, v13, 0xbf737871, v1
	v_fmac_f32_e32 v1, 0x3f737871, v13
	v_dual_add_f32 v7, v7, v4 :: v_dual_fmamk_f32 v4, v9, 0x3f737871, v0
	v_fmac_f32_e32 v0, 0xbf737871, v9
	s_delay_alu instid0(VALU_DEP_4) | instskip(NEXT) | instid1(VALU_DEP_4)
	v_fmac_f32_e32 v5, 0xbf167918, v12
	v_fmac_f32_e32 v1, 0x3f167918, v12
	s_delay_alu instid0(VALU_DEP_4) | instskip(NEXT) | instid1(VALU_DEP_4)
	v_fmac_f32_e32 v4, 0x3f167918, v8
	v_fmac_f32_e32 v0, 0xbf167918, v8
	s_delay_alu instid0(VALU_DEP_4) | instskip(NEXT) | instid1(VALU_DEP_3)
	v_fmac_f32_e32 v5, 0x3e9e377a, v7
	v_dual_fmac_f32 v1, 0x3e9e377a, v7 :: v_dual_fmac_f32 v4, 0x3e9e377a, v6
	s_delay_alu instid0(VALU_DEP_3)
	v_fmac_f32_e32 v0, 0x3e9e377a, v6
	ds_store_2addr_b64 v11, v[2:3], v[4:5] offset1:25
	ds_store_b64 v11, v[0:1] offset:800
	s_waitcnt lgkmcnt(0)
	s_waitcnt_vscnt null, 0x0
	s_barrier
	buffer_gl0_inv
	s_clause 0x1
	global_load_b128 v[80:83], v154, s[10:11] offset:960
	global_load_b128 v[65:68], v154, s[10:11] offset:976
	ds_load_2addr_b64 v[43:46], v245 offset0:98 offset1:223
	ds_load_2addr_b64 v[140:143], v224 offset1:125
	s_waitcnt vmcnt(1) lgkmcnt(1)
	v_mul_f32_e32 v0, v44, v83
	v_mul_f32_e32 v164, v43, v83
	;; [unrolled: 1-line block ×3, first 2 shown]
	s_delay_alu instid0(VALU_DEP_3) | instskip(SKIP_1) | instid1(VALU_DEP_4)
	v_fma_f32 v165, v43, v82, -v0
	v_mul_f32_e32 v0, v46, v83
	v_fmac_f32_e32 v164, v44, v82
	s_delay_alu instid0(VALU_DEP_4) | instskip(NEXT) | instid1(VALU_DEP_3)
	v_fmac_f32_e32 v159, v46, v82
	v_fma_f32 v158, v45, v82, -v0
	ds_load_2addr_b64 v[43:46], v235 offset0:68 offset1:193
	s_waitcnt vmcnt(0) lgkmcnt(0)
	v_mul_f32_e32 v0, v44, v68
	v_mul_f32_e32 v163, v45, v68
	v_mul_f32_e32 v166, v43, v68
	s_delay_alu instid0(VALU_DEP_3) | instskip(SKIP_1) | instid1(VALU_DEP_4)
	v_fma_f32 v167, v43, v67, -v0
	v_mul_f32_e32 v0, v46, v68
	v_fmac_f32_e32 v163, v46, v67
	ds_load_2addr_b64 v[46:49], v234 offset0:86 offset1:211
	v_fmac_f32_e32 v166, v44, v67
	v_fma_f32 v162, v45, v67, -v0
	v_mul_u32_u24_e32 v0, 0x625, v42
	s_delay_alu instid0(VALU_DEP_1) | instskip(NEXT) | instid1(VALU_DEP_1)
	v_lshrrev_b32_e32 v0, 16, v0
	v_sub_nc_u16 v1, v153, v0
	s_delay_alu instid0(VALU_DEP_1) | instskip(SKIP_2) | instid1(VALU_DEP_2)
	v_lshrrev_b16 v1, 1, v1
	s_waitcnt lgkmcnt(0)
	v_mul_f32_e32 v15, v48, v66
	v_add_nc_u16 v4, v1, v0
	v_mul_u32_u24_e32 v0, 0x625, v41
	s_delay_alu instid0(VALU_DEP_3) | instskip(NEXT) | instid1(VALU_DEP_3)
	v_fmac_f32_e32 v15, v49, v65
	v_lshrrev_b16 v4, 6, v4
	s_delay_alu instid0(VALU_DEP_3) | instskip(NEXT) | instid1(VALU_DEP_3)
	v_lshrrev_b32_e32 v0, 16, v0
	v_sub_f32_e32 v8, v166, v15
	v_add_f32_e32 v3, v164, v15
	v_sub_f32_e32 v19, v164, v15
	v_mul_lo_u16 v4, 0x7d, v4
	v_sub_nc_u16 v1, v150, v0
	s_delay_alu instid0(VALU_DEP_4) | instskip(NEXT) | instid1(VALU_DEP_3)
	v_fma_f32 v3, -0.5, v3, v141
	v_sub_nc_u16 v155, v153, v4
	s_delay_alu instid0(VALU_DEP_3) | instskip(NEXT) | instid1(VALU_DEP_1)
	v_lshrrev_b16 v1, 1, v1
	v_add_nc_u16 v5, v1, v0
	v_mul_u32_u24_e32 v0, 0x625, v40
	ds_load_2addr_b64 v[40:43], v249 offset0:116 offset1:241
	v_lshrrev_b16 v5, 6, v5
	v_lshrrev_b32_e32 v0, 16, v0
	s_delay_alu instid0(VALU_DEP_2) | instskip(NEXT) | instid1(VALU_DEP_2)
	v_mul_lo_u16 v4, 0x7d, v5
	v_sub_nc_u16 v1, v151, v0
	s_delay_alu instid0(VALU_DEP_2) | instskip(NEXT) | instid1(VALU_DEP_2)
	v_sub_nc_u16 v156, v150, v4
	v_lshrrev_b16 v1, 1, v1
	s_delay_alu instid0(VALU_DEP_1) | instskip(SKIP_3) | instid1(VALU_DEP_3)
	v_add_nc_u16 v6, v1, v0
	s_waitcnt lgkmcnt(0)
	v_mul_f32_e32 v16, v42, v81
	v_mul_f32_e32 v0, v43, v81
	v_lshrrev_b16 v6, 6, v6
	s_delay_alu instid0(VALU_DEP_3) | instskip(NEXT) | instid1(VALU_DEP_3)
	v_fmac_f32_e32 v16, v43, v80
	v_fma_f32 v12, v42, v80, -v0
	v_mul_f32_e32 v0, v49, v66
	s_delay_alu instid0(VALU_DEP_4) | instskip(SKIP_2) | instid1(VALU_DEP_4)
	v_mul_lo_u16 v5, 0x7d, v6
	v_lshlrev_b16 v6, 5, v155
	v_sub_f32_e32 v7, v16, v164
	v_fma_f32 v13, v48, v65, -v0
	v_sub_f32_e32 v0, v12, v165
	v_sub_nc_u16 v157, v151, v5
	s_delay_alu instid0(VALU_DEP_4) | instskip(SKIP_2) | instid1(VALU_DEP_3)
	v_dual_add_f32 v17, v7, v8 :: v_dual_and_b32 v6, 0xffff, v6
	v_lshlrev_b16 v7, 5, v156
	v_dual_sub_f32 v1, v167, v13 :: v_dual_sub_f32 v20, v12, v167
	v_add_co_u32 v4, s2, s10, v6
	v_lshlrev_b16 v6, 5, v157
	s_delay_alu instid0(VALU_DEP_4) | instskip(SKIP_2) | instid1(VALU_DEP_4)
	v_and_b32_e32 v10, 0xffff, v7
	v_add_co_ci_u32_e64 v5, null, s11, 0, s2
	v_fmamk_f32 v9, v20, 0xbf737871, v3
	v_dual_sub_f32 v21, v165, v13 :: v_dual_and_b32 v6, 0xffff, v6
	v_fmac_f32_e32 v3, 0x3f737871, v20
	s_delay_alu instid0(VALU_DEP_2) | instskip(NEXT) | instid1(VALU_DEP_1)
	v_add_co_u32 v6, s2, s10, v6
	v_add_co_ci_u32_e64 v7, null, s11, 0, s2
	v_add_co_u32 v10, s2, s10, v10
	s_delay_alu instid0(VALU_DEP_1)
	v_add_co_ci_u32_e64 v11, null, s11, 0, s2
	s_clause 0x5
	global_load_b128 v[209:212], v[6:7], off offset:960
	global_load_b128 v[72:75], v[6:7], off offset:976
	;; [unrolled: 1-line block ×6, first 2 shown]
	ds_load_b64 v[148:149], v224 offset:24000
	ds_load_2addr_b64 v[144:147], v246 offset0:110 offset1:235
	ds_load_2addr_b64 v[136:139], v221 offset0:80 offset1:205
	;; [unrolled: 1-line block ×3, first 2 shown]
	v_add_f32_e32 v14, v0, v1
	ds_load_2addr_b64 v[60:63], v233 offset0:62 offset1:187
	ds_load_2addr_b64 v[56:59], v222 offset0:104 offset1:229
	;; [unrolled: 1-line block ×4, first 2 shown]
	v_fmac_f32_e32 v9, 0xbf167918, v21
	s_waitcnt vmcnt(0) lgkmcnt(0)
	s_barrier
	buffer_gl0_inv
	v_sub_f32_e32 v7, v15, v166
	v_fmac_f32_e32 v9, 0x3e9e377a, v17
	v_fmac_f32_e32 v3, 0x3f167918, v21
	s_delay_alu instid0(VALU_DEP_1) | instskip(SKIP_4) | instid1(VALU_DEP_3)
	v_fmac_f32_e32 v3, 0x3e9e377a, v17
	v_mul_f32_e32 v27, v146, v186
	v_dual_mul_f32 v29, v138, v174 :: v_dual_add_f32 v0, v140, v12
	v_mul_f32_e32 v31, v84, v188
	v_dual_mul_f32 v33, v86, v180 :: v_dual_add_f32 v2, v165, v13
	v_fmac_f32_e32 v29, v139, v173
	s_delay_alu instid0(VALU_DEP_3) | instskip(SKIP_1) | instid1(VALU_DEP_2)
	v_dual_add_f32 v0, v0, v165 :: v_dual_fmac_f32 v31, v85, v187
	v_dual_add_f32 v1, v141, v16 :: v_dual_sub_f32 v18, v16, v166
	v_dual_fmac_f32 v33, v87, v179 :: v_dual_add_f32 v0, v0, v13
	v_fma_f32 v2, -0.5, v2, v140
	s_delay_alu instid0(VALU_DEP_3) | instskip(SKIP_1) | instid1(VALU_DEP_4)
	v_dual_add_f32 v1, v1, v164 :: v_dual_add_f32 v4, v12, v167
	v_sub_f32_e32 v6, v164, v16
	v_add_f32_e32 v0, v0, v167
	s_delay_alu instid0(VALU_DEP_3) | instskip(SKIP_1) | instid1(VALU_DEP_4)
	v_dual_fmamk_f32 v8, v18, 0x3f737871, v2 :: v_dual_add_f32 v1, v1, v15
	v_fmac_f32_e32 v2, 0xbf737871, v18
	v_dual_add_f32 v6, v6, v7 :: v_dual_mul_f32 v7, v136, v66
	s_delay_alu instid0(VALU_DEP_3) | instskip(NEXT) | instid1(VALU_DEP_3)
	v_dual_fmac_f32 v8, 0x3f167918, v19 :: v_dual_add_f32 v1, v1, v166
	v_dual_fmac_f32 v27, v147, v185 :: v_dual_fmac_f32 v2, 0xbf167918, v19
	s_delay_alu instid0(VALU_DEP_2) | instskip(SKIP_1) | instid1(VALU_DEP_2)
	v_dual_fmac_f32 v7, v137, v65 :: v_dual_fmac_f32 v8, 0x3e9e377a, v14
	v_mul_f32_e32 v35, v60, v176
	v_dual_mul_f32 v15, v46, v212 :: v_dual_sub_f32 v10, v159, v7
	ds_store_2addr_b64 v224, v[0:1], v[8:9] offset1:125
	v_sub_f32_e32 v0, v165, v12
	v_sub_f32_e32 v1, v13, v167
	v_dual_fmac_f32 v35, v61, v175 :: v_dual_fmac_f32 v2, 0x3e9e377a, v14
	v_sub_f32_e32 v12, v163, v7
	v_fmac_f32_e32 v15, v47, v211
	s_delay_alu instid0(VALU_DEP_4) | instskip(SKIP_1) | instid1(VALU_DEP_1)
	v_add_f32_e32 v5, v0, v1
	v_fma_f32 v0, -0.5, v4, v140
	v_dual_add_f32 v1, v16, v166 :: v_dual_fmamk_f32 v4, v19, 0xbf737871, v0
	v_fmac_f32_e32 v0, 0x3f737871, v19
	s_delay_alu instid0(VALU_DEP_2) | instskip(NEXT) | instid1(VALU_DEP_3)
	v_fma_f32 v1, -0.5, v1, v141
	v_dual_mul_f32 v19, v50, v73 :: v_dual_fmac_f32 v4, 0x3f167918, v18
	s_delay_alu instid0(VALU_DEP_1) | instskip(NEXT) | instid1(VALU_DEP_2)
	v_dual_fmac_f32 v0, 0xbf167918, v18 :: v_dual_fmac_f32 v19, v51, v72
	v_fmac_f32_e32 v4, 0x3e9e377a, v5
	s_delay_alu instid0(VALU_DEP_2) | instskip(SKIP_3) | instid1(VALU_DEP_3)
	v_fmac_f32_e32 v0, 0x3e9e377a, v5
	v_fmamk_f32 v5, v21, 0x3f737871, v1
	v_fmac_f32_e32 v1, 0xbf737871, v21
	v_sub_f32_e32 v21, v15, v19
	v_fmac_f32_e32 v5, 0xbf167918, v20
	s_delay_alu instid0(VALU_DEP_3) | instskip(NEXT) | instid1(VALU_DEP_2)
	v_dual_fmac_f32 v1, 0x3f167918, v20 :: v_dual_mul_f32 v20, v58, v210
	v_fmac_f32_e32 v5, 0x3e9e377a, v6
	s_delay_alu instid0(VALU_DEP_2) | instskip(SKIP_3) | instid1(VALU_DEP_2)
	v_fmac_f32_e32 v1, 0x3e9e377a, v6
	ds_store_2addr_b64 v223, v[4:5], v[0:1] offset0:122 offset1:247
	v_mul_f32_e32 v0, v145, v81
	v_mul_f32_e32 v5, v144, v81
	v_fma_f32 v4, v144, v80, -v0
	s_delay_alu instid0(VALU_DEP_2) | instskip(SKIP_1) | instid1(VALU_DEP_3)
	v_fmac_f32_e32 v5, v145, v80
	v_mul_f32_e32 v0, v137, v66
	v_sub_f32_e32 v13, v4, v162
	s_delay_alu instid0(VALU_DEP_3) | instskip(NEXT) | instid1(VALU_DEP_3)
	v_add_f32_e32 v1, v143, v5
	v_fma_f32 v6, v136, v65, -v0
	v_dual_add_f32 v0, v142, v4 :: v_dual_sub_f32 v11, v5, v163
	s_delay_alu instid0(VALU_DEP_1) | instskip(NEXT) | instid1(VALU_DEP_1)
	v_dual_add_f32 v1, v1, v159 :: v_dual_add_f32 v0, v0, v158
	v_dual_add_f32 v1, v1, v7 :: v_dual_add_f32 v0, v0, v6
	s_delay_alu instid0(VALU_DEP_1) | instskip(SKIP_4) | instid1(VALU_DEP_2)
	v_dual_add_f32 v1, v1, v163 :: v_dual_add_f32 v0, v0, v162
	ds_store_2addr_b64 v249, v[2:3], v[0:1] offset0:116 offset1:241
	v_sub_f32_e32 v0, v4, v158
	v_sub_f32_e32 v1, v162, v6
	v_dual_sub_f32 v2, v6, v162 :: v_dual_sub_f32 v3, v159, v5
	v_add_f32_e32 v8, v0, v1
	v_add_f32_e32 v0, v158, v6
	;; [unrolled: 1-line block ×3, first 2 shown]
	v_sub_f32_e32 v6, v158, v6
	s_delay_alu instid0(VALU_DEP_3) | instskip(NEXT) | instid1(VALU_DEP_3)
	v_fma_f32 v0, -0.5, v0, v142
	v_fma_f32 v142, -0.5, v1, v142
	v_sub_f32_e32 v1, v158, v4
	s_delay_alu instid0(VALU_DEP_2) | instskip(SKIP_1) | instid1(VALU_DEP_3)
	v_fmamk_f32 v4, v10, 0xbf737871, v142
	v_fmac_f32_e32 v142, 0x3f737871, v10
	v_add_f32_e32 v9, v1, v2
	v_add_f32_e32 v1, v159, v7
	v_sub_f32_e32 v2, v5, v159
	v_add_f32_e32 v5, v5, v163
	v_fmac_f32_e32 v142, 0xbf167918, v11
	v_fmac_f32_e32 v4, 0x3f167918, v11
	v_fma_f32 v1, -0.5, v1, v143
	v_sub_f32_e32 v7, v7, v163
	v_fmac_f32_e32 v143, -0.5, v5
	v_fmac_f32_e32 v142, 0x3e9e377a, v9
	v_dual_fmac_f32 v4, 0x3e9e377a, v9 :: v_dual_add_f32 v9, v43, v27
	s_delay_alu instid0(VALU_DEP_4)
	v_dual_add_f32 v12, v2, v12 :: v_dual_add_f32 v7, v3, v7
	v_fmamk_f32 v2, v11, 0x3f737871, v0
	v_dual_fmac_f32 v0, 0xbf737871, v11 :: v_dual_fmamk_f32 v3, v13, 0xbf737871, v1
	v_fmac_f32_e32 v1, 0x3f737871, v13
	v_fmamk_f32 v5, v6, 0x3f737871, v143
	v_fmac_f32_e32 v143, 0xbf737871, v6
	s_delay_alu instid0(VALU_DEP_4) | instskip(NEXT) | instid1(VALU_DEP_4)
	v_dual_add_f32 v9, v9, v31 :: v_dual_fmac_f32 v0, 0xbf167918, v10
	v_fmac_f32_e32 v1, 0x3f167918, v6
	v_fmac_f32_e32 v3, 0xbf167918, v6
	s_delay_alu instid0(VALU_DEP_4) | instskip(NEXT) | instid1(VALU_DEP_4)
	v_fmac_f32_e32 v143, 0x3f167918, v13
	v_dual_add_f32 v9, v9, v29 :: v_dual_fmac_f32 v2, 0x3f167918, v10
	s_delay_alu instid0(VALU_DEP_4) | instskip(NEXT) | instid1(VALU_DEP_4)
	v_fmac_f32_e32 v1, 0x3e9e377a, v12
	v_fmac_f32_e32 v3, 0x3e9e377a, v12
	s_delay_alu instid0(VALU_DEP_4) | instskip(NEXT) | instid1(VALU_DEP_4)
	v_fmac_f32_e32 v143, 0x3e9e377a, v7
	v_dual_add_f32 v9, v9, v35 :: v_dual_fmac_f32 v0, 0x3e9e377a, v8
	v_fmac_f32_e32 v5, 0xbf167918, v13
	v_dual_fmac_f32 v2, 0x3e9e377a, v8 :: v_dual_mul_f32 v13, v148, v75
	ds_store_2addr_b64 v222, v[142:143], v[0:1] offset0:104 offset1:229
	v_dual_mul_f32 v0, v47, v212 :: v_dual_fmac_f32 v5, 0x3e9e377a, v7
	v_fmac_f32_e32 v13, v149, v74
	v_mul_f32_e32 v47, v56, v178
	s_delay_alu instid0(VALU_DEP_3)
	v_fma_f32 v14, v46, v211, -v0
	v_mul_f32_e32 v0, v149, v75
	ds_store_2addr_b64 v246, v[2:3], v[4:5] offset0:110 offset1:235
	v_fmac_f32_e32 v47, v57, v177
	v_fma_f32 v12, v148, v74, -v0
	v_mul_f32_e32 v0, v51, v73
	s_delay_alu instid0(VALU_DEP_1) | instskip(SKIP_2) | instid1(VALU_DEP_3)
	v_fma_f32 v16, v50, v72, -v0
	v_mul_f32_e32 v0, v59, v210
	v_fmac_f32_e32 v20, v59, v209
	v_sub_f32_e32 v2, v16, v12
	s_delay_alu instid0(VALU_DEP_3) | instskip(SKIP_1) | instid1(VALU_DEP_4)
	v_fma_f32 v17, v58, v209, -v0
	v_add_f32_e32 v0, v14, v16
	v_sub_f32_e32 v22, v20, v13
	v_add_f32_e32 v3, v20, v13
	v_add_f32_e32 v23, v41, v20
	v_dual_add_f32 v1, v17, v12 :: v_dual_add_f32 v18, v40, v17
	v_fma_f32 v0, -0.5, v0, v40
	v_sub_f32_e32 v24, v14, v16
	v_sub_f32_e32 v25, v17, v12
	s_delay_alu instid0(VALU_DEP_4) | instskip(SKIP_1) | instid1(VALU_DEP_1)
	v_fma_f32 v40, -0.5, v1, v40
	v_sub_f32_e32 v1, v14, v17
	v_add_f32_e32 v1, v1, v2
	s_delay_alu instid0(VALU_DEP_3) | instskip(SKIP_1) | instid1(VALU_DEP_2)
	v_fmamk_f32 v2, v21, 0xbf737871, v40
	v_fmac_f32_e32 v40, 0x3f737871, v21
	v_fmac_f32_e32 v2, 0x3f167918, v22
	s_delay_alu instid0(VALU_DEP_2) | instskip(NEXT) | instid1(VALU_DEP_2)
	v_fmac_f32_e32 v40, 0xbf167918, v22
	v_fmac_f32_e32 v2, 0x3e9e377a, v1
	s_delay_alu instid0(VALU_DEP_2) | instskip(NEXT) | instid1(VALU_DEP_1)
	v_dual_fmac_f32 v40, 0x3e9e377a, v1 :: v_dual_add_f32 v1, v15, v19
	v_fma_f32 v1, -0.5, v1, v41
	v_fmac_f32_e32 v41, -0.5, v3
	v_sub_f32_e32 v3, v15, v20
	v_sub_f32_e32 v4, v19, v13
	s_delay_alu instid0(VALU_DEP_1) | instskip(SKIP_1) | instid1(VALU_DEP_2)
	v_dual_add_f32 v4, v3, v4 :: v_dual_fmamk_f32 v3, v24, 0x3f737871, v41
	v_fmac_f32_e32 v41, 0xbf737871, v24
	v_fmac_f32_e32 v3, 0xbf167918, v25
	s_delay_alu instid0(VALU_DEP_2) | instskip(NEXT) | instid1(VALU_DEP_2)
	v_fmac_f32_e32 v41, 0x3f167918, v25
	v_fmac_f32_e32 v3, 0x3e9e377a, v4
	s_delay_alu instid0(VALU_DEP_2) | instskip(SKIP_1) | instid1(VALU_DEP_1)
	v_fmac_f32_e32 v41, 0x3e9e377a, v4
	v_and_b32_e32 v4, 0xffff, v157
	v_lshlrev_b32_e32 v4, 3, v4
	s_delay_alu instid0(VALU_DEP_1) | instskip(SKIP_2) | instid1(VALU_DEP_1)
	v_dual_mov_b32 v38, v4 :: v_dual_add_nc_u32 v5, 0x5400, v4
	ds_store_2addr_b64 v5, v[2:3], v[40:41] offset0:62 offset1:187
	v_dual_mul_f32 v2, v147, v186 :: v_dual_mul_f32 v41, v62, v79
	v_fma_f32 v26, v146, v185, -v2
	v_mul_f32_e32 v2, v139, v174
	s_delay_alu instid0(VALU_DEP_3) | instskip(NEXT) | instid1(VALU_DEP_3)
	v_fmac_f32_e32 v41, v63, v78
	v_add_f32_e32 v8, v42, v26
	s_delay_alu instid0(VALU_DEP_3) | instskip(SKIP_1) | instid1(VALU_DEP_1)
	v_fma_f32 v28, v138, v173, -v2
	v_mul_f32_e32 v2, v85, v188
	v_fma_f32 v30, v84, v187, -v2
	v_mul_f32_e32 v2, v87, v180
	s_delay_alu instid0(VALU_DEP_2) | instskip(NEXT) | instid1(VALU_DEP_2)
	v_sub_f32_e32 v10, v26, v30
	v_fma_f32 v32, v86, v179, -v2
	v_dual_mul_f32 v2, v61, v176 :: v_dual_and_b32 v61, 0xffff, v155
	v_add_f32_e32 v8, v8, v30
	s_delay_alu instid0(VALU_DEP_2) | instskip(SKIP_1) | instid1(VALU_DEP_4)
	v_fma_f32 v34, v60, v175, -v2
	v_mul_f32_e32 v2, v63, v79
	v_lshlrev_b32_e32 v52, 3, v61
	s_delay_alu instid0(VALU_DEP_4) | instskip(NEXT) | instid1(VALU_DEP_4)
	v_add_f32_e32 v8, v8, v28
	v_sub_f32_e32 v11, v34, v28
	s_delay_alu instid0(VALU_DEP_4) | instskip(NEXT) | instid1(VALU_DEP_4)
	v_fma_f32 v40, v62, v78, -v2
	v_dual_mul_f32 v2, v57, v178 :: v_dual_add_nc_u32 v53, 0x2400, v52
	scratch_store_b32 off, v5, off offset:240 ; 4-byte Folded Spill
	v_add_f32_e32 v5, v47, v41
	v_add_f32_e32 v57, v45, v47
	v_fma_f32 v46, v56, v177, -v2
	scratch_store_b32 off, v53, off offset:248 ; 4-byte Folded Spill
	v_mul_f32_e32 v2, v49, v77
	v_mov_b32_e32 v254, v170
	v_dual_sub_f32 v56, v47, v41 :: v_dual_add_f32 v3, v46, v40
	v_sub_f32_e32 v59, v46, v40
	s_delay_alu instid0(VALU_DEP_4)
	v_fma_f32 v50, v48, v76, -v2
	v_mul_f32_e32 v48, v48, v77
	v_sub_f32_e32 v60, v26, v34
	v_sub_f32_e32 v62, v30, v28
	v_add_f32_e32 v8, v8, v34
	v_add_f32_e32 v2, v32, v50
	v_dual_fmac_f32 v48, v49, v76 :: v_dual_add_f32 v49, v44, v46
	v_sub_f32_e32 v4, v50, v40
	v_sub_f32_e32 v58, v32, v50
	s_delay_alu instid0(VALU_DEP_4) | instskip(SKIP_3) | instid1(VALU_DEP_2)
	v_fma_f32 v2, -0.5, v2, v44
	v_fma_f32 v44, -0.5, v3, v44
	v_sub_f32_e32 v3, v32, v46
	v_dual_sub_f32 v51, v33, v48 :: v_dual_sub_f32 v6, v48, v41
	v_add_f32_e32 v3, v3, v4
	s_delay_alu instid0(VALU_DEP_2) | instskip(SKIP_1) | instid1(VALU_DEP_2)
	v_fmamk_f32 v4, v51, 0xbf737871, v44
	v_fmac_f32_e32 v44, 0x3f737871, v51
	v_fmac_f32_e32 v4, 0x3f167918, v56
	s_delay_alu instid0(VALU_DEP_2) | instskip(NEXT) | instid1(VALU_DEP_2)
	v_fmac_f32_e32 v44, 0xbf167918, v56
	v_fmac_f32_e32 v4, 0x3e9e377a, v3
	s_delay_alu instid0(VALU_DEP_2) | instskip(NEXT) | instid1(VALU_DEP_1)
	v_dual_fmac_f32 v44, 0x3e9e377a, v3 :: v_dual_add_f32 v3, v33, v48
	v_fma_f32 v3, -0.5, v3, v45
	v_fmac_f32_e32 v45, -0.5, v5
	v_sub_f32_e32 v5, v33, v47
	s_delay_alu instid0(VALU_DEP_1) | instskip(SKIP_1) | instid1(VALU_DEP_2)
	v_dual_add_f32 v6, v5, v6 :: v_dual_fmamk_f32 v5, v58, 0x3f737871, v45
	v_fmac_f32_e32 v45, 0xbf737871, v58
	v_fmac_f32_e32 v5, 0xbf167918, v59
	s_delay_alu instid0(VALU_DEP_2) | instskip(NEXT) | instid1(VALU_DEP_2)
	v_fmac_f32_e32 v45, 0x3f167918, v59
	v_fmac_f32_e32 v5, 0x3e9e377a, v6
	s_delay_alu instid0(VALU_DEP_2) | instskip(SKIP_1) | instid1(VALU_DEP_1)
	v_fmac_f32_e32 v45, 0x3e9e377a, v6
	v_and_b32_e32 v6, 0xffff, v156
	v_lshlrev_b32_e32 v6, 3, v6
	s_delay_alu instid0(VALU_DEP_1)
	v_add_nc_u32_e32 v7, 0x4000, v6
	v_mov_b32_e32 v39, v6
	v_add_f32_e32 v6, v26, v34
	ds_store_2addr_b64 v7, v[4:5], v[44:45] offset0:77 offset1:202
	v_dual_add_f32 v4, v30, v28 :: v_dual_add_f32 v5, v31, v29
	scratch_store_b32 off, v7, off offset:244 ; 4-byte Folded Spill
	v_add_f32_e32 v7, v27, v35
	v_fma_f32 v6, -0.5, v6, v42
	v_fma_f32 v4, -0.5, v4, v42
	;; [unrolled: 1-line block ×3, first 2 shown]
	v_add_f32_e32 v42, v10, v11
	v_sub_f32_e32 v10, v27, v31
	v_sub_f32_e32 v11, v35, v29
	v_sub_f32_e32 v44, v27, v35
	v_fma_f32 v7, -0.5, v7, v43
	v_sub_f32_e32 v45, v31, v29
	s_delay_alu instid0(VALU_DEP_3) | instskip(SKIP_3) | instid1(VALU_DEP_4)
	v_dual_add_f32 v43, v10, v11 :: v_dual_fmamk_f32 v10, v44, 0x3f737871, v4
	v_fmamk_f32 v11, v60, 0xbf737871, v5
	v_fmac_f32_e32 v5, 0x3f737871, v60
	v_fmac_f32_e32 v4, 0xbf737871, v44
	;; [unrolled: 1-line block ×3, first 2 shown]
	s_delay_alu instid0(VALU_DEP_4) | instskip(NEXT) | instid1(VALU_DEP_4)
	v_fmac_f32_e32 v11, 0xbf167918, v62
	v_fmac_f32_e32 v5, 0x3f167918, v62
	s_delay_alu instid0(VALU_DEP_4) | instskip(NEXT) | instid1(VALU_DEP_3)
	v_fmac_f32_e32 v4, 0xbf167918, v45
	v_dual_fmac_f32 v10, 0x3e9e377a, v42 :: v_dual_fmac_f32 v11, 0x3e9e377a, v43
	s_delay_alu instid0(VALU_DEP_2) | instskip(SKIP_4) | instid1(VALU_DEP_2)
	v_dual_fmac_f32 v5, 0x3e9e377a, v43 :: v_dual_fmac_f32 v4, 0x3e9e377a, v42
	ds_store_2addr_b64 v53, v[8:9], v[10:11] offset0:98 offset1:223
	v_sub_f32_e32 v8, v30, v26
	v_dual_sub_f32 v9, v28, v34 :: v_dual_sub_f32 v10, v31, v27
	v_sub_f32_e32 v11, v29, v35
	v_dual_add_f32 v9, v8, v9 :: v_dual_fmamk_f32 v8, v45, 0xbf737871, v6
	v_fmac_f32_e32 v6, 0x3f737871, v45
	s_delay_alu instid0(VALU_DEP_3) | instskip(NEXT) | instid1(VALU_DEP_3)
	v_dual_add_f32 v10, v10, v11 :: v_dual_sub_f32 v11, v41, v48
	v_fmac_f32_e32 v8, 0x3f167918, v44
	s_delay_alu instid0(VALU_DEP_3) | instskip(NEXT) | instid1(VALU_DEP_2)
	v_fmac_f32_e32 v6, 0xbf167918, v44
	v_fmac_f32_e32 v8, 0x3e9e377a, v9
	s_delay_alu instid0(VALU_DEP_2) | instskip(SKIP_2) | instid1(VALU_DEP_2)
	v_fmac_f32_e32 v6, 0x3e9e377a, v9
	v_fmamk_f32 v9, v62, 0x3f737871, v7
	v_fmac_f32_e32 v7, 0xbf737871, v62
	v_fmac_f32_e32 v9, 0xbf167918, v60
	s_delay_alu instid0(VALU_DEP_2) | instskip(NEXT) | instid1(VALU_DEP_2)
	v_fmac_f32_e32 v7, 0x3f167918, v60
	v_fmac_f32_e32 v9, 0x3e9e377a, v10
	s_delay_alu instid0(VALU_DEP_2)
	v_fmac_f32_e32 v7, 0x3e9e377a, v10
	v_add_nc_u32_e32 v10, 0x2c00, v52
	s_clause 0x1
	scratch_store_b32 off, v10, off offset:252
	scratch_store_b32 off, v52, off offset:268
	ds_store_2addr_b64 v10, v[8:9], v[6:7] offset0:92 offset1:217
	v_dual_sub_f32 v8, v46, v32 :: v_dual_sub_f32 v9, v40, v50
	v_add_f32_e32 v6, v49, v32
	v_add_f32_e32 v7, v57, v33
	v_sub_f32_e32 v10, v47, v33
	ds_store_b64 v52, v[4:5] offset:14000
	v_add_f32_e32 v26, v8, v9
	v_fmamk_f32 v8, v56, 0x3f737871, v2
	v_dual_fmamk_f32 v9, v59, 0xbf737871, v3 :: v_dual_add_f32 v6, v6, v50
	v_dual_add_f32 v7, v7, v48 :: v_dual_add_f32 v10, v10, v11
	s_delay_alu instid0(VALU_DEP_3) | instskip(NEXT) | instid1(VALU_DEP_3)
	v_fmac_f32_e32 v8, 0x3f167918, v51
	v_dual_fmac_f32 v9, 0xbf167918, v58 :: v_dual_add_f32 v6, v6, v40
	s_delay_alu instid0(VALU_DEP_3) | instskip(SKIP_1) | instid1(VALU_DEP_4)
	v_add_f32_e32 v7, v7, v41
	v_add_nc_u32_e32 v11, 0x3800, v39
	v_fmac_f32_e32 v8, 0x3e9e377a, v26
	s_delay_alu instid0(VALU_DEP_4)
	v_fmac_f32_e32 v9, 0x3e9e377a, v10
	v_fmac_f32_e32 v2, 0xbf737871, v56
	v_dual_fmac_f32 v3, 0x3f737871, v59 :: v_dual_lshlrev_b32 v4, 5, v152
	ds_store_2addr_b64 v11, v[6:7], v[8:9] offset0:83 offset1:208
	v_dual_add_f32 v6, v18, v14 :: v_dual_add_f32 v7, v23, v15
	v_dual_sub_f32 v8, v17, v14 :: v_dual_sub_f32 v9, v12, v16
	v_fmac_f32_e32 v2, 0xbf167918, v51
	s_delay_alu instid0(VALU_DEP_3) | instskip(SKIP_1) | instid1(VALU_DEP_3)
	v_dual_add_f32 v6, v6, v16 :: v_dual_add_f32 v7, v7, v19
	v_fmac_f32_e32 v3, 0x3f167918, v58
	v_fmac_f32_e32 v2, 0x3e9e377a, v26
	s_delay_alu instid0(VALU_DEP_3) | instskip(SKIP_4) | instid1(VALU_DEP_3)
	v_dual_add_f32 v6, v6, v12 :: v_dual_add_f32 v7, v7, v13
	v_dual_sub_f32 v12, v13, v19 :: v_dual_add_f32 v13, v8, v9
	v_fmamk_f32 v9, v25, 0xbf737871, v1
	v_fmac_f32_e32 v1, 0x3f737871, v25
	v_fmac_f32_e32 v3, 0x3e9e377a, v10
	;; [unrolled: 1-line block ×3, first 2 shown]
	s_clause 0x1
	scratch_store_b32 off, v11, off offset:256
	scratch_store_b32 off, v38, off offset:260
	v_sub_f32_e32 v11, v20, v15
	v_fmac_f32_e32 v1, 0x3f167918, v24
	s_delay_alu instid0(VALU_DEP_2)
	v_dual_add_f32 v11, v11, v12 :: v_dual_fmamk_f32 v8, v22, 0x3f737871, v0
	v_fmac_f32_e32 v0, 0xbf737871, v22
	v_add_nc_u32_e32 v12, 0x4c00, v38
	scratch_store_b32 off, v39, off offset:264 ; 4-byte Folded Spill
	v_fmac_f32_e32 v9, 0x3e9e377a, v11
	v_fmac_f32_e32 v8, 0x3f167918, v21
	;; [unrolled: 1-line block ×4, first 2 shown]
	scratch_store_b32 off, v12, off offset:272 ; 4-byte Folded Spill
	v_fmac_f32_e32 v8, 0x3e9e377a, v13
	v_fmac_f32_e32 v0, 0x3e9e377a, v13
	ds_store_2addr_b64 v12, v[6:7], v[8:9] offset0:68 offset1:193
	ds_store_b64 v39, v[2:3] offset:19000
	ds_store_b64 v38, v[0:1] offset:24000
	v_add_co_u32 v2, s2, s10, v154
	s_delay_alu instid0(VALU_DEP_1) | instskip(SKIP_1) | instid1(VALU_DEP_3)
	v_add_co_ci_u32_e64 v3, null, s11, 0, s2
	v_add_co_u32 v6, s2, s10, v4
	v_add_co_u32 v0, vcc_lo, 0x1000, v2
	s_delay_alu instid0(VALU_DEP_3) | instskip(SKIP_4) | instid1(VALU_DEP_3)
	v_add_co_ci_u32_e32 v1, vcc_lo, 0, v3, vcc_lo
	v_add_co_u32 v2, vcc_lo, 0x1360, v2
	v_add_co_ci_u32_e64 v7, null, s11, 0, s2
	v_add_co_ci_u32_e32 v3, vcc_lo, 0, v3, vcc_lo
	v_add_co_u32 v4, vcc_lo, 0x1000, v6
	v_add_co_ci_u32_e32 v5, vcc_lo, 0, v7, vcc_lo
	v_add_co_u32 v6, vcc_lo, 0x1360, v6
	s_waitcnt lgkmcnt(0)
	s_waitcnt_vscnt null, 0x0
	s_barrier
	buffer_gl0_inv
	s_clause 0x1
	global_load_b128 v[197:200], v[0:1], off offset:864
	global_load_b128 v[189:192], v[2:3], off offset:16
	v_add_co_ci_u32_e32 v7, vcc_lo, 0, v7, vcc_lo
	ds_load_2addr_b64 v[58:61], v245 offset0:98 offset1:223
	s_clause 0x1
	global_load_b128 v[193:196], v[4:5], off offset:864
	global_load_b128 v[181:184], v[6:7], off offset:16
	ds_load_2addr_b64 v[136:139], v246 offset0:110 offset1:235
	s_waitcnt vmcnt(3) lgkmcnt(1)
	v_mul_f32_e32 v0, v59, v200
	v_mul_f32_e32 v141, v58, v200
	s_delay_alu instid0(VALU_DEP_2)
	v_fma_f32 v140, v58, v199, -v0
	s_waitcnt vmcnt(1)
	v_mul_f32_e32 v0, v61, v196
	v_mul_f32_e32 v162, v60, v196
	s_waitcnt lgkmcnt(0)
	v_mul_f32_e32 v4, v137, v194
	v_dual_mul_f32 v168, v136, v194 :: v_dual_fmac_f32 v141, v59, v199
	v_fma_f32 v163, v60, v195, -v0
	v_fmac_f32_e32 v162, v61, v195
	ds_load_2addr_b64 v[60:63], v235 offset0:68 offset1:193
	v_fma_f32 v169, v136, v193, -v4
	v_fmac_f32_e32 v168, v137, v193
	s_waitcnt lgkmcnt(0)
	v_mul_f32_e32 v0, v61, v192
	v_mul_f32_e32 v143, v60, v192
	s_waitcnt vmcnt(0)
	v_mul_f32_e32 v164, v62, v184
	s_delay_alu instid0(VALU_DEP_3) | instskip(NEXT) | instid1(VALU_DEP_3)
	v_fma_f32 v142, v60, v191, -v0
	v_dual_mul_f32 v0, v63, v184 :: v_dual_fmac_f32 v143, v61, v191
	s_delay_alu instid0(VALU_DEP_3) | instskip(NEXT) | instid1(VALU_DEP_2)
	v_fmac_f32_e32 v164, v63, v183
	v_fma_f32 v165, v62, v183, -v0
	s_delay_alu instid0(VALU_DEP_2) | instskip(NEXT) | instid1(VALU_DEP_2)
	v_dual_sub_f32 v33, v168, v164 :: v_dual_lshlrev_b32 v0, 5, v153
	v_sub_f32_e32 v35, v169, v165
	s_delay_alu instid0(VALU_DEP_2) | instskip(NEXT) | instid1(VALU_DEP_1)
	v_add_co_u32 v2, s2, s10, v0
	v_add_co_ci_u32_e64 v3, null, s11, 0, s2
	s_delay_alu instid0(VALU_DEP_2) | instskip(NEXT) | instid1(VALU_DEP_2)
	v_add_co_u32 v0, vcc_lo, 0x1000, v2
	v_add_co_ci_u32_e32 v1, vcc_lo, 0, v3, vcc_lo
	v_add_co_u32 v2, vcc_lo, 0x1360, v2
	v_add_co_ci_u32_e32 v3, vcc_lo, 0, v3, vcc_lo
	s_clause 0x1
	global_load_b128 v[60:63], v[0:1], off offset:864
	global_load_b128 v[84:87], v[2:3], off offset:16
	ds_load_2addr_b64 v[152:155], v249 offset0:116 offset1:241
	ds_load_2addr_b64 v[156:159], v234 offset0:86 offset1:211
	s_waitcnt lgkmcnt(1)
	v_mul_f32_e32 v3, v154, v198
	s_waitcnt lgkmcnt(0)
	s_delay_alu instid0(VALU_DEP_1) | instskip(NEXT) | instid1(VALU_DEP_1)
	v_dual_mul_f32 v2, v158, v190 :: v_dual_fmac_f32 v3, v155, v197
	v_fmac_f32_e32 v2, v159, v189
	s_delay_alu instid0(VALU_DEP_2) | instskip(NEXT) | instid1(VALU_DEP_2)
	v_sub_f32_e32 v11, v3, v143
	v_sub_f32_e32 v5, v143, v2
	v_sub_f32_e32 v10, v141, v2
	s_waitcnt vmcnt(1)
	v_mul_f32_e32 v0, v139, v61
	v_mul_f32_e32 v170, v138, v61
	s_delay_alu instid0(VALU_DEP_2) | instskip(NEXT) | instid1(VALU_DEP_2)
	v_fma_f32 v171, v138, v60, -v0
	v_fmac_f32_e32 v170, v139, v60
	ds_load_2addr_b64 v[136:139], v221 offset0:80 offset1:205
	v_sub_f32_e32 v4, v3, v141
	s_waitcnt lgkmcnt(0)
	s_delay_alu instid0(VALU_DEP_1) | instskip(SKIP_2) | instid1(VALU_DEP_2)
	v_dual_add_f32 v9, v4, v5 :: v_dual_mul_f32 v0, v137, v182
	s_waitcnt vmcnt(0)
	v_dual_mul_f32 v172, v136, v182 :: v_dual_mul_f32 v167, v138, v85
	v_fma_f32 v236, v136, v181, -v0
	v_mul_f32_e32 v0, v139, v85
	s_delay_alu instid0(VALU_DEP_3) | instskip(NEXT) | instid1(VALU_DEP_3)
	v_dual_fmac_f32 v172, v137, v181 :: v_dual_fmac_f32 v167, v139, v84
	v_sub_f32_e32 v34, v163, v236
	s_delay_alu instid0(VALU_DEP_3) | instskip(SKIP_3) | instid1(VALU_DEP_2)
	v_fma_f32 v166, v138, v84, -v0
	ds_load_2addr_b64 v[136:139], v224 offset1:125
	v_mul_f32_e32 v0, v155, v198
	v_sub_f32_e32 v32, v162, v172
	v_fma_f32 v144, v154, v197, -v0
	v_mul_f32_e32 v0, v159, v190
	s_delay_alu instid0(VALU_DEP_2) | instskip(NEXT) | instid1(VALU_DEP_2)
	v_sub_f32_e32 v14, v144, v142
	v_fma_f32 v145, v158, v189, -v0
	v_sub_f32_e32 v0, v144, v140
	s_delay_alu instid0(VALU_DEP_2)
	v_dual_sub_f32 v6, v140, v144 :: v_dual_sub_f32 v1, v142, v145
	v_sub_f32_e32 v7, v145, v142
	v_sub_f32_e32 v15, v140, v145
	s_waitcnt lgkmcnt(0)
	v_dual_add_f32 v4, v136, v144 :: v_dual_add_f32 v5, v137, v3
	v_add_f32_e32 v8, v0, v1
	v_dual_add_f32 v0, v140, v145 :: v_dual_add_f32 v1, v141, v2
	s_delay_alu instid0(VALU_DEP_3) | instskip(SKIP_1) | instid1(VALU_DEP_3)
	v_dual_add_f32 v4, v4, v140 :: v_dual_add_f32 v5, v5, v141
	v_add_f32_e32 v16, v6, v7
	v_fma_f32 v0, -0.5, v0, v136
	s_delay_alu instid0(VALU_DEP_4) | instskip(NEXT) | instid1(VALU_DEP_4)
	v_fma_f32 v1, -0.5, v1, v137
	v_dual_add_f32 v4, v4, v145 :: v_dual_add_f32 v5, v5, v2
	s_delay_alu instid0(VALU_DEP_1) | instskip(SKIP_3) | instid1(VALU_DEP_2)
	v_dual_add_f32 v12, v4, v142 :: v_dual_add_f32 v13, v5, v143
	v_sub_f32_e32 v4, v141, v3
	v_add_f32_e32 v3, v3, v143
	v_dual_sub_f32 v5, v2, v143 :: v_dual_add_f32 v2, v144, v142
	v_fma_f32 v3, -0.5, v3, v137
	s_delay_alu instid0(VALU_DEP_2) | instskip(NEXT) | instid1(VALU_DEP_3)
	v_add_f32_e32 v17, v4, v5
	v_fma_f32 v2, -0.5, v2, v136
	v_fmamk_f32 v4, v11, 0x3f737871, v0
	v_fmamk_f32 v5, v14, 0xbf737871, v1
	;; [unrolled: 1-line block ×3, first 2 shown]
	s_delay_alu instid0(VALU_DEP_4)
	v_dual_fmac_f32 v3, 0xbf737871, v15 :: v_dual_fmamk_f32 v6, v10, 0xbf737871, v2
	v_fmac_f32_e32 v2, 0x3f737871, v10
	v_fmac_f32_e32 v0, 0xbf737871, v11
	;; [unrolled: 1-line block ×6, first 2 shown]
	v_dual_fmac_f32 v7, 0xbf167918, v14 :: v_dual_fmac_f32 v2, 0xbf167918, v11
	v_fmac_f32_e32 v3, 0x3f167918, v14
	v_fmac_f32_e32 v0, 0xbf167918, v10
	;; [unrolled: 1-line block ×3, first 2 shown]
	v_dual_fmac_f32 v4, 0x3e9e377a, v8 :: v_dual_fmac_f32 v5, 0x3e9e377a, v9
	v_dual_fmac_f32 v6, 0x3e9e377a, v16 :: v_dual_fmac_f32 v7, 0x3e9e377a, v17
	;; [unrolled: 1-line block ×3, first 2 shown]
	s_delay_alu instid0(VALU_DEP_4)
	v_dual_fmac_f32 v0, 0x3e9e377a, v8 :: v_dual_fmac_f32 v1, 0x3e9e377a, v9
	ds_store_b64 v224, v[4:5] offset:5000
	ds_store_b64 v224, v[6:7] offset:10000
	;; [unrolled: 1-line block ×4, first 2 shown]
	v_dual_add_f32 v0, v138, v169 :: v_dual_add_f32 v1, v139, v168
	s_delay_alu instid0(VALU_DEP_1) | instskip(NEXT) | instid1(VALU_DEP_1)
	v_dual_add_f32 v0, v0, v163 :: v_dual_add_f32 v1, v1, v162
	v_add_f32_e32 v0, v0, v236
	s_delay_alu instid0(VALU_DEP_1) | instskip(NEXT) | instid1(VALU_DEP_1)
	v_dual_add_f32 v1, v1, v172 :: v_dual_add_f32 v14, v0, v165
	v_add_f32_e32 v15, v1, v164
	ds_load_b64 v[16:17], v224 offset:24000
	ds_load_2addr_b64 v[0:3], v223 offset0:122 offset1:247
	ds_load_2addr_b64 v[142:145], v254 offset0:92 offset1:217
	ds_load_2addr_b64 v[146:149], v233 offset0:62 offset1:187
	ds_load_2addr_b64 v[4:7], v222 offset0:104 offset1:229
	ds_load_2addr_b64 v[8:11], v55 offset0:74 offset1:199
	ds_store_2addr_b64 v224, v[12:13], v[14:15] offset1:125
	v_dual_add_f32 v12, v163, v236 :: v_dual_add_f32 v13, v169, v165
	v_sub_f32_e32 v14, v236, v165
	v_sub_f32_e32 v15, v172, v164
	s_delay_alu instid0(VALU_DEP_3) | instskip(NEXT) | instid1(VALU_DEP_4)
	v_fma_f32 v12, -0.5, v12, v138
	v_fma_f32 v138, -0.5, v13, v138
	v_sub_f32_e32 v13, v163, v169
	s_delay_alu instid0(VALU_DEP_1)
	v_dual_add_f32 v48, v13, v14 :: v_dual_add_f32 v13, v162, v172
	s_waitcnt lgkmcnt(3)
	v_mul_f32_e32 v29, v146, v87
	v_mul_f32_e32 v30, v142, v63
	v_add_f32_e32 v54, v0, v171
	v_fma_f32 v13, -0.5, v13, v139
	s_delay_alu instid0(VALU_DEP_4) | instskip(NEXT) | instid1(VALU_DEP_4)
	v_dual_fmac_f32 v29, v147, v86 :: v_dual_add_f32 v14, v168, v164
	v_fmac_f32_e32 v30, v143, v62
	s_delay_alu instid0(VALU_DEP_2) | instskip(NEXT) | instid1(VALU_DEP_3)
	v_sub_f32_e32 v19, v167, v29
	v_dual_fmac_f32 v139, -0.5, v14 :: v_dual_sub_f32 v14, v162, v168
	s_delay_alu instid0(VALU_DEP_3) | instskip(SKIP_2) | instid1(VALU_DEP_4)
	v_sub_f32_e32 v18, v30, v170
	v_sub_f32_e32 v64, v30, v167
	v_sub_f32_e32 v69, v170, v29
	v_add_f32_e32 v46, v14, v15
	v_mul_f32_e32 v14, v143, v63
	v_add_f32_e32 v40, v18, v19
	v_fmamk_f32 v18, v32, 0xbf737871, v138
	v_dual_fmac_f32 v138, 0x3f737871, v32 :: v_dual_fmamk_f32 v19, v34, 0x3f737871, v139
	s_delay_alu instid0(VALU_DEP_4) | instskip(SKIP_1) | instid1(VALU_DEP_3)
	v_fma_f32 v27, v142, v62, -v14
	v_dual_mul_f32 v14, v147, v87 :: v_dual_fmac_f32 v139, 0xbf737871, v34
	v_dual_fmac_f32 v138, 0xbf167918, v33 :: v_dual_fmac_f32 v19, 0xbf167918, v35
	s_delay_alu instid0(VALU_DEP_3) | instskip(NEXT) | instid1(VALU_DEP_3)
	v_sub_f32_e32 v70, v27, v166
	v_fma_f32 v28, v146, v86, -v14
	v_sub_f32_e32 v14, v27, v171
	v_fmac_f32_e32 v139, 0x3f167918, v35
	v_dual_fmac_f32 v138, 0x3e9e377a, v48 :: v_dual_fmac_f32 v19, 0x3e9e377a, v46
	s_delay_alu instid0(VALU_DEP_4) | instskip(SKIP_1) | instid1(VALU_DEP_4)
	v_sub_f32_e32 v15, v166, v28
	v_sub_f32_e32 v71, v171, v28
	v_fmac_f32_e32 v139, 0x3e9e377a, v46
	v_add_nc_u32_e32 v46, 0x5000, v224
	s_delay_alu instid0(VALU_DEP_4) | instskip(SKIP_1) | instid1(VALU_DEP_1)
	v_add_f32_e32 v44, v14, v15
	v_dual_add_f32 v14, v171, v28 :: v_dual_add_f32 v15, v170, v29
	v_fma_f32 v14, -0.5, v14, v0
	s_delay_alu instid0(VALU_DEP_2) | instskip(NEXT) | instid1(VALU_DEP_2)
	v_fma_f32 v15, -0.5, v15, v1
	v_fmamk_f32 v20, v64, 0xbf737871, v14
	s_delay_alu instid0(VALU_DEP_2) | instskip(SKIP_1) | instid1(VALU_DEP_2)
	v_dual_fmac_f32 v14, 0x3f737871, v64 :: v_dual_fmamk_f32 v21, v70, 0x3f737871, v15
	v_fmac_f32_e32 v15, 0xbf737871, v70
	v_dual_fmac_f32 v14, 0xbf167918, v69 :: v_dual_fmac_f32 v21, 0xbf167918, v71
	s_delay_alu instid0(VALU_DEP_2) | instskip(NEXT) | instid1(VALU_DEP_2)
	v_fmac_f32_e32 v15, 0x3f167918, v71
	v_fmac_f32_e32 v14, 0x3e9e377a, v44
	s_delay_alu instid0(VALU_DEP_2) | instskip(SKIP_2) | instid1(VALU_DEP_1)
	v_fmac_f32_e32 v15, 0x3e9e377a, v40
	ds_store_2addr_b64 v221, v[138:139], v[14:15] offset0:80 offset1:205
	v_lshlrev_b32_e32 v14, 5, v150
	v_add_co_u32 v22, s2, s10, v14
	s_delay_alu instid0(VALU_DEP_1) | instskip(NEXT) | instid1(VALU_DEP_2)
	v_add_co_ci_u32_e64 v23, null, s11, 0, s2
	v_add_co_u32 v14, vcc_lo, 0x1000, v22
	s_delay_alu instid0(VALU_DEP_2)
	v_add_co_ci_u32_e32 v15, vcc_lo, 0, v23, vcc_lo
	v_add_co_u32 v22, vcc_lo, 0x1360, v22
	v_add_co_ci_u32_e32 v23, vcc_lo, 0, v23, vcc_lo
	s_clause 0x1
	global_load_b128 v[136:139], v[14:15], off offset:864
	global_load_b128 v[140:143], v[22:23], off offset:16
	s_waitcnt vmcnt(1)
	v_mul_f32_e32 v14, v145, v139
	v_mul_f32_e32 v155, v144, v139
	s_waitcnt vmcnt(0)
	v_mul_f32_e32 v159, v148, v143
	s_waitcnt lgkmcnt(3)
	v_mul_f32_e32 v37, v4, v137
	v_fma_f32 v154, v144, v138, -v14
	v_mul_f32_e32 v14, v149, v143
	v_mul_f32_e32 v144, v5, v137
	v_fmac_f32_e32 v155, v145, v138
	v_fmac_f32_e32 v159, v149, v142
	;; [unrolled: 1-line block ×3, first 2 shown]
	v_fma_f32 v158, v148, v142, -v14
	v_lshlrev_b32_e32 v14, 5, v151
	v_fma_f32 v24, v4, v136, -v144
	s_delay_alu instid0(VALU_DEP_4) | instskip(SKIP_1) | instid1(VALU_DEP_4)
	v_add_f32_e32 v31, v3, v37
	v_sub_f32_e32 v51, v37, v159
	v_add_co_u32 v22, s2, s10, v14
	s_delay_alu instid0(VALU_DEP_1) | instskip(SKIP_1) | instid1(VALU_DEP_3)
	v_add_co_ci_u32_e64 v23, null, s11, 0, s2
	v_add_f32_e32 v5, v24, v158
	v_add_co_u32 v14, vcc_lo, 0x1000, v22
	s_delay_alu instid0(VALU_DEP_3)
	v_add_co_ci_u32_e32 v15, vcc_lo, 0, v23, vcc_lo
	v_add_co_u32 v22, vcc_lo, 0x1360, v22
	v_add_co_ci_u32_e32 v23, vcc_lo, 0, v23, vcc_lo
	s_clause 0x1
	global_load_b128 v[144:147], v[14:15], off offset:864
	global_load_b128 v[148:151], v[22:23], off offset:16
	v_dual_add_f32 v36, v2, v24 :: v_dual_sub_f32 v57, v24, v158
	s_mul_i32 s2, s5, 0x1388
	s_delay_alu instid0(SALU_CYCLE_1)
	s_add_i32 s2, s3, s2
	s_mul_i32 s3, s4, 0x1388
	s_waitcnt vmcnt(1)
	v_dual_mul_f32 v4, v7, v145 :: v_dual_mul_f32 v39, v156, v147
	v_mul_f32_e32 v23, v6, v145
	s_waitcnt vmcnt(0) lgkmcnt(2)
	v_mul_f32_e32 v41, v10, v149
	s_delay_alu instid0(VALU_DEP_3)
	v_fma_f32 v22, v6, v144, -v4
	v_mul_f32_e32 v4, v157, v147
	v_fmac_f32_e32 v39, v157, v146
	v_mul_f32_e32 v157, v8, v141
	v_fmac_f32_e32 v23, v7, v144
	v_fmac_f32_e32 v41, v11, v148
	v_fma_f32 v38, v156, v146, -v4
	v_mul_f32_e32 v4, v9, v141
	v_dual_fmac_f32 v157, v9, v140 :: v_dual_add_f32 v56, v152, v22
	v_add_f32_e32 v52, v153, v23
	v_sub_f32_e32 v58, v39, v41
	s_delay_alu instid0(VALU_DEP_4) | instskip(NEXT) | instid1(VALU_DEP_4)
	v_fma_f32 v156, v8, v140, -v4
	v_dual_mul_f32 v4, v11, v149 :: v_dual_sub_f32 v7, v157, v159
	v_sub_f32_e32 v50, v155, v157
	s_delay_alu instid0(VALU_DEP_3) | instskip(NEXT) | instid1(VALU_DEP_3)
	v_sub_f32_e32 v6, v156, v158
	v_fma_f32 v26, v10, v148, -v4
	v_dual_mul_f32 v4, v17, v151 :: v_dual_sub_f32 v25, v154, v156
	s_delay_alu instid0(VALU_DEP_1) | instskip(SKIP_2) | instid1(VALU_DEP_3)
	v_fma_f32 v42, v16, v150, -v4
	v_add_f32_e32 v4, v154, v156
	v_mul_f32_e32 v16, v16, v151
	v_sub_f32_e32 v8, v26, v42
	s_delay_alu instid0(VALU_DEP_3) | instskip(SKIP_1) | instid1(VALU_DEP_4)
	v_fma_f32 v4, -0.5, v4, v2
	v_fma_f32 v2, -0.5, v5, v2
	v_dual_sub_f32 v5, v154, v24 :: v_dual_fmac_f32 v16, v17, v150
	v_sub_f32_e32 v17, v38, v26
	v_sub_f32_e32 v53, v22, v42
	s_delay_alu instid0(VALU_DEP_3) | instskip(SKIP_3) | instid1(VALU_DEP_3)
	v_add_f32_e32 v43, v5, v6
	v_dual_add_f32 v5, v155, v157 :: v_dual_add_f32 v6, v37, v159
	v_sub_f32_e32 v9, v41, v16
	v_sub_f32_e32 v59, v23, v16
	v_fma_f32 v5, -0.5, v5, v3
	s_delay_alu instid0(VALU_DEP_4) | instskip(NEXT) | instid1(VALU_DEP_1)
	v_dual_fmac_f32 v3, -0.5, v6 :: v_dual_sub_f32 v6, v155, v37
	v_add_f32_e32 v45, v6, v7
	v_add_f32_e32 v6, v38, v26
	;; [unrolled: 1-line block ×3, first 2 shown]
	v_dual_sub_f32 v15, v164, v172 :: v_dual_mov_b32 v172, v245
	s_delay_alu instid0(VALU_DEP_3) | instskip(NEXT) | instid1(VALU_DEP_3)
	v_fma_f32 v6, -0.5, v6, v152
	v_fma_f32 v152, -0.5, v7, v152
	v_sub_f32_e32 v7, v38, v22
	v_sub_f32_e32 v14, v168, v162
	s_delay_alu instid0(VALU_DEP_2) | instskip(SKIP_3) | instid1(VALU_DEP_3)
	v_dual_fmamk_f32 v10, v58, 0xbf737871, v152 :: v_dual_add_f32 v47, v7, v8
	v_add_f32_e32 v7, v39, v41
	v_add_f32_e32 v8, v23, v16
	v_fmac_f32_e32 v152, 0x3f737871, v58
	v_fma_f32 v7, -0.5, v7, v153
	s_delay_alu instid0(VALU_DEP_3) | instskip(NEXT) | instid1(VALU_DEP_3)
	v_dual_fmac_f32 v153, -0.5, v8 :: v_dual_sub_f32 v8, v39, v23
	v_fmac_f32_e32 v152, 0xbf167918, v59
	s_delay_alu instid0(VALU_DEP_2) | instskip(NEXT) | instid1(VALU_DEP_3)
	v_fmamk_f32 v11, v17, 0x3f737871, v153
	v_dual_add_f32 v49, v8, v9 :: v_dual_fmamk_f32 v8, v50, 0xbf737871, v2
	v_dual_fmac_f32 v2, 0x3f737871, v50 :: v_dual_fmamk_f32 v9, v25, 0x3f737871, v3
	v_fmac_f32_e32 v3, 0xbf737871, v25
	v_fmac_f32_e32 v153, 0xbf737871, v17
	;; [unrolled: 1-line block ×3, first 2 shown]
	s_delay_alu instid0(VALU_DEP_4) | instskip(NEXT) | instid1(VALU_DEP_4)
	v_dual_fmac_f32 v2, 0xbf167918, v51 :: v_dual_fmac_f32 v9, 0xbf167918, v57
	v_fmac_f32_e32 v3, 0x3f167918, v57
	s_delay_alu instid0(VALU_DEP_4) | instskip(NEXT) | instid1(VALU_DEP_3)
	v_dual_fmac_f32 v153, 0x3f167918, v53 :: v_dual_fmac_f32 v8, 0x3f167918, v51
	v_dual_fmac_f32 v2, 0x3e9e377a, v43 :: v_dual_fmac_f32 v9, 0x3e9e377a, v45
	s_delay_alu instid0(VALU_DEP_3) | instskip(NEXT) | instid1(VALU_DEP_3)
	v_fmac_f32_e32 v3, 0x3e9e377a, v45
	v_fmac_f32_e32 v153, 0x3e9e377a, v49
	v_dual_mov_b32 v45, v233 :: v_dual_fmac_f32 v10, 0x3f167918, v59
	v_fmac_f32_e32 v11, 0xbf167918, v53
	v_fmac_f32_e32 v8, 0x3e9e377a, v43
	ds_store_2addr_b64 v55, v[2:3], v[152:153] offset0:74 offset1:199
	v_dual_add_f32 v2, v27, v166 :: v_dual_add_f32 v3, v30, v167
	v_add_f32_e32 v55, v1, v170
	v_add_f32_e32 v153, v14, v15
	v_fmac_f32_e32 v10, 0x3e9e377a, v47
	s_delay_alu instid0(VALU_DEP_4)
	v_fma_f32 v2, -0.5, v2, v0
	v_fma_f32 v3, -0.5, v3, v1
	v_sub_f32_e32 v0, v169, v163
	v_sub_f32_e32 v1, v165, v236
	v_fmac_f32_e32 v11, 0x3e9e377a, v49
	v_fmamk_f32 v14, v69, 0x3f737871, v2
	v_dual_fmamk_f32 v15, v71, 0xbf737871, v3 :: v_dual_fmac_f32 v2, 0xbf737871, v69
	s_delay_alu instid0(VALU_DEP_4) | instskip(SKIP_4) | instid1(VALU_DEP_4)
	v_add_f32_e32 v152, v0, v1
	v_dual_sub_f32 v0, v171, v27 :: v_dual_sub_f32 v1, v28, v166
	v_fmac_f32_e32 v3, 0x3f737871, v71
	v_fmac_f32_e32 v14, 0x3f167918, v64
	v_dual_fmac_f32 v15, 0xbf167918, v70 :: v_dual_fmac_f32 v2, 0xbf167918, v64
	v_add_f32_e32 v162, v0, v1
	v_dual_sub_f32 v0, v170, v30 :: v_dual_sub_f32 v1, v29, v167
	v_fmac_f32_e32 v3, 0x3f167918, v70
	v_add_nc_u32_e32 v43, 0x3000, v224
	s_delay_alu instid0(VALU_DEP_4) | instskip(NEXT) | instid1(VALU_DEP_4)
	v_fmac_f32_e32 v14, 0x3e9e377a, v162
	v_dual_fmac_f32 v2, 0x3e9e377a, v162 :: v_dual_add_f32 v163, v0, v1
	v_fmamk_f32 v0, v33, 0x3f737871, v12
	v_dual_fmamk_f32 v1, v35, 0xbf737871, v13 :: v_dual_fmac_f32 v12, 0xbf737871, v33
	v_fmac_f32_e32 v13, 0x3f737871, v35
	s_delay_alu instid0(VALU_DEP_4) | instskip(NEXT) | instid1(VALU_DEP_4)
	v_fmac_f32_e32 v15, 0x3e9e377a, v163
	v_fmac_f32_e32 v0, 0x3f167918, v32
	s_delay_alu instid0(VALU_DEP_4) | instskip(NEXT) | instid1(VALU_DEP_4)
	v_dual_fmac_f32 v1, 0xbf167918, v34 :: v_dual_fmac_f32 v12, 0xbf167918, v32
	v_fmac_f32_e32 v13, 0x3f167918, v34
	s_delay_alu instid0(VALU_DEP_3) | instskip(NEXT) | instid1(VALU_DEP_3)
	v_dual_fmac_f32 v3, 0x3e9e377a, v163 :: v_dual_fmac_f32 v0, 0x3e9e377a, v152
	v_dual_fmac_f32 v1, 0x3e9e377a, v153 :: v_dual_fmac_f32 v12, 0x3e9e377a, v152
	s_delay_alu instid0(VALU_DEP_3)
	v_fmac_f32_e32 v13, 0x3e9e377a, v153
	ds_store_2addr_b64 v43, v[8:9], v[10:11] offset0:89 offset1:214
	ds_store_2addr_b64 v246, v[0:1], v[14:15] offset0:110 offset1:235
	v_add_f32_e32 v0, v54, v27
	ds_store_2addr_b64 v46, v[12:13], v[2:3] offset0:65 offset1:190
	v_add_f32_e32 v1, v55, v30
	v_dual_add_f32 v2, v36, v154 :: v_dual_add_f32 v3, v31, v155
	s_delay_alu instid0(VALU_DEP_2) | instskip(NEXT) | instid1(VALU_DEP_2)
	v_dual_add_f32 v0, v0, v166 :: v_dual_add_f32 v1, v1, v167
	v_dual_add_f32 v2, v2, v156 :: v_dual_add_f32 v3, v3, v157
	s_delay_alu instid0(VALU_DEP_2) | instskip(NEXT) | instid1(VALU_DEP_2)
	v_dual_add_f32 v0, v0, v28 :: v_dual_add_f32 v1, v1, v29
	v_dual_add_f32 v2, v2, v158 :: v_dual_add_f32 v3, v3, v159
	ds_store_2addr_b64 v223, v[0:1], v[2:3] offset0:122 offset1:247
	v_dual_sub_f32 v0, v24, v154 :: v_dual_sub_f32 v1, v158, v156
	v_dual_sub_f32 v2, v37, v155 :: v_dual_sub_f32 v3, v159, v157
	s_delay_alu instid0(VALU_DEP_2) | instskip(SKIP_2) | instid1(VALU_DEP_4)
	v_dual_mov_b32 v37, v234 :: v_dual_add_f32 v12, v0, v1
	v_sub_f32_e32 v0, v22, v38
	v_sub_f32_e32 v1, v42, v26
	v_dual_add_f32 v13, v2, v3 :: v_dual_fmamk_f32 v2, v59, 0x3f737871, v6
	v_dual_fmamk_f32 v3, v53, 0xbf737871, v7 :: v_dual_fmac_f32 v6, 0xbf737871, v59
	s_delay_alu instid0(VALU_DEP_3) | instskip(SKIP_1) | instid1(VALU_DEP_4)
	v_add_f32_e32 v14, v0, v1
	v_dual_sub_f32 v0, v23, v39 :: v_dual_sub_f32 v1, v16, v41
	v_fmac_f32_e32 v2, 0x3f167918, v58
	s_delay_alu instid0(VALU_DEP_4) | instskip(SKIP_1) | instid1(VALU_DEP_4)
	v_fmac_f32_e32 v3, 0xbf167918, v17
	v_fmac_f32_e32 v7, 0x3f737871, v53
	v_dual_fmac_f32 v6, 0xbf167918, v58 :: v_dual_add_f32 v15, v0, v1
	v_fmamk_f32 v0, v51, 0x3f737871, v4
	v_fmamk_f32 v1, v57, 0xbf737871, v5
	v_fmac_f32_e32 v2, 0x3e9e377a, v14
	v_fmac_f32_e32 v4, 0xbf737871, v51
	;; [unrolled: 1-line block ×8, first 2 shown]
	s_delay_alu instid0(VALU_DEP_4) | instskip(NEXT) | instid1(VALU_DEP_4)
	v_dual_fmac_f32 v0, 0x3e9e377a, v12 :: v_dual_fmac_f32 v1, 0x3e9e377a, v13
	v_fmac_f32_e32 v5, 0x3f167918, v25
	v_fmac_f32_e32 v21, 0x3e9e377a, v40
	;; [unrolled: 1-line block ×4, first 2 shown]
	ds_store_2addr_b64 v222, v[0:1], v[2:3] offset0:104 offset1:229
	v_add_f32_e32 v0, v56, v38
	v_add_f32_e32 v1, v52, v39
	v_fmac_f32_e32 v5, 0x3e9e377a, v13
	v_fmac_f32_e32 v7, 0x3e9e377a, v15
	v_add_nc_u32_e32 v40, 0x5800, v224
	s_delay_alu instid0(VALU_DEP_4)
	v_dual_add_f32 v0, v0, v26 :: v_dual_add_f32 v1, v1, v41
	v_fmac_f32_e32 v18, 0x3f167918, v33
	ds_store_2addr_b64 v40, v[4:5], v[6:7] offset0:59 offset1:184
	v_dual_add_f32 v0, v0, v42 :: v_dual_add_f32 v1, v1, v16
	v_fmac_f32_e32 v20, 0x3f167918, v69
	v_fmac_f32_e32 v18, 0x3e9e377a, v48
	v_mov_b32_e32 v42, v221
	ds_store_b64 v224, v[0:1] offset:4000
	v_add_co_u32 v0, vcc_lo, 0x6000, v160
	v_fmac_f32_e32 v20, 0x3e9e377a, v44
	v_add_nc_u32_e32 v44, 0x2800, v224
	v_add_co_ci_u32_e32 v1, vcc_lo, 0, v161, vcc_lo
	v_add_co_u32 v6, vcc_lo, 0x7000, v160
	ds_store_2addr_b64 v44, v[18:19], v[20:21] offset0:95 offset1:220
	s_waitcnt lgkmcnt(0)
	s_barrier
	buffer_gl0_inv
	global_load_b64 v[4:5], v[0:1], off offset:424
	v_add_co_ci_u32_e32 v7, vcc_lo, 0, v161, vcc_lo
	s_clause 0x1
	global_load_b64 v[8:9], v[6:7], off offset:3328
	global_load_b64 v[28:29], v[6:7], off offset:1328
	ds_load_2addr_b64 v[0:3], v224 offset1:125
	s_waitcnt vmcnt(2) lgkmcnt(0)
	v_mul_f32_e32 v10, v1, v5
	v_mul_f32_e32 v13, v0, v5
	s_delay_alu instid0(VALU_DEP_2) | instskip(SKIP_1) | instid1(VALU_DEP_3)
	v_fma_f32 v12, v0, v4, -v10
	v_add_co_u32 v0, vcc_lo, 0x61a8, v160
	v_fmac_f32_e32 v13, v1, v4
	v_add_co_ci_u32_e32 v1, vcc_lo, 0, v161, vcc_lo
	s_clause 0x3
	global_load_b64 v[4:5], v[0:1], off offset:1000
	global_load_b64 v[14:15], v[0:1], off offset:2000
	;; [unrolled: 1-line block ×4, first 2 shown]
	v_add_co_u32 v18, vcc_lo, 0x8000, v160
	v_add_co_ci_u32_e32 v19, vcc_lo, 0, v161, vcc_lo
	ds_store_b64 v224, v[12:13]
	s_clause 0x2
	global_load_b64 v[12:13], v[18:19], off offset:2232
	global_load_b64 v[22:23], v[18:19], off offset:3232
	;; [unrolled: 1-line block ×3, first 2 shown]
	s_waitcnt vmcnt(6)
	v_mul_f32_e32 v0, v3, v5
	v_mul_f32_e32 v33, v2, v5
	s_delay_alu instid0(VALU_DEP_2) | instskip(NEXT) | instid1(VALU_DEP_2)
	v_fma_f32 v32, v2, v4, -v0
	v_fmac_f32_e32 v33, v3, v4
	ds_load_2addr_b64 v[0:3], v245 offset0:98 offset1:223
	s_waitcnt vmcnt(2) lgkmcnt(0)
	v_mul_f32_e32 v4, v1, v13
	v_mul_f32_e32 v155, v0, v13
	s_waitcnt vmcnt(1)
	v_mul_f32_e32 v21, v2, v23
	s_delay_alu instid0(VALU_DEP_3) | instskip(SKIP_1) | instid1(VALU_DEP_3)
	v_fma_f32 v154, v0, v12, -v4
	v_mul_f32_e32 v0, v3, v23
	v_fmac_f32_e32 v21, v3, v22
	v_fmac_f32_e32 v155, v1, v12
	s_delay_alu instid0(VALU_DEP_3)
	v_fma_f32 v20, v2, v22, -v0
	v_add_co_u32 v22, vcc_lo, 0xa000, v160
	v_add_co_ci_u32_e32 v23, vcc_lo, 0, v161, vcc_lo
	v_add_co_u32 v156, vcc_lo, 0xb000, v160
	v_add_co_ci_u32_e32 v157, vcc_lo, 0, v161, vcc_lo
	s_clause 0x4
	global_load_b64 v[158:159], v[22:23], off offset:4040
	global_load_b64 v[162:163], v[156:157], off offset:944
	;; [unrolled: 1-line block ×5, first 2 shown]
	ds_load_2addr_b64 v[0:3], v235 offset0:68 offset1:193
	s_waitcnt vmcnt(4) lgkmcnt(0)
	v_mul_f32_e32 v4, v1, v159
	v_mul_f32_e32 v169, v0, v159
	s_waitcnt vmcnt(3)
	v_mul_f32_e32 v159, v2, v163
	s_delay_alu instid0(VALU_DEP_3) | instskip(NEXT) | instid1(VALU_DEP_3)
	v_fma_f32 v168, v0, v158, -v4
	v_dual_mul_f32 v0, v3, v163 :: v_dual_fmac_f32 v169, v1, v158
	s_delay_alu instid0(VALU_DEP_3) | instskip(NEXT) | instid1(VALU_DEP_2)
	v_fmac_f32_e32 v159, v3, v162
	v_fma_f32 v158, v2, v162, -v0
	ds_load_2addr_b64 v[0:3], v246 offset0:110 offset1:235
	s_waitcnt vmcnt(0) lgkmcnt(0)
	v_mul_f32_e32 v4, v1, v7
	v_mul_f32_e32 v163, v0, v7
	;; [unrolled: 1-line block ×3, first 2 shown]
	s_delay_alu instid0(VALU_DEP_3) | instskip(SKIP_1) | instid1(VALU_DEP_3)
	v_fma_f32 v162, v0, v6, -v4
	v_mul_f32_e32 v0, v3, v9
	v_fmac_f32_e32 v13, v3, v8
	v_fmac_f32_e32 v163, v1, v6
	s_delay_alu instid0(VALU_DEP_3)
	v_fma_f32 v12, v2, v8, -v0
	s_clause 0x3
	global_load_b64 v[8:9], v[22:23], off offset:40
	global_load_b64 v[170:171], v[22:23], off offset:1040
	;; [unrolled: 1-line block ×4, first 2 shown]
	ds_load_2addr_b64 v[0:3], v221 offset0:80 offset1:205
	s_waitcnt vmcnt(3) lgkmcnt(0)
	v_dual_mov_b32 v221, v40 :: v_dual_mul_f32 v4, v1, v9
	v_mul_f32_e32 v27, v0, v9
	s_waitcnt vmcnt(2)
	v_mul_f32_e32 v9, v2, v171
	s_delay_alu instid0(VALU_DEP_3) | instskip(NEXT) | instid1(VALU_DEP_3)
	v_fma_f32 v26, v0, v8, -v4
	v_dual_mul_f32 v0, v3, v171 :: v_dual_fmac_f32 v27, v1, v8
	s_delay_alu instid0(VALU_DEP_3) | instskip(NEXT) | instid1(VALU_DEP_2)
	v_fmac_f32_e32 v9, v3, v170
	v_fma_f32 v8, v2, v170, -v0
	ds_load_2addr_b64 v[0:3], v223 offset0:122 offset1:247
	s_waitcnt lgkmcnt(0)
	v_mul_f32_e32 v4, v1, v15
	v_mul_f32_e32 v171, v0, v15
	;; [unrolled: 1-line block ×3, first 2 shown]
	s_delay_alu instid0(VALU_DEP_3) | instskip(NEXT) | instid1(VALU_DEP_3)
	v_fma_f32 v170, v0, v14, -v4
	v_dual_mul_f32 v0, v3, v17 :: v_dual_fmac_f32 v171, v1, v14
	s_delay_alu instid0(VALU_DEP_3) | instskip(NEXT) | instid1(VALU_DEP_2)
	v_fmac_f32_e32 v15, v3, v16
	v_fma_f32 v14, v2, v16, -v0
	v_add_co_u32 v16, vcc_lo, 0x9000, v160
	v_add_co_ci_u32_e32 v17, vcc_lo, 0, v161, vcc_lo
	s_clause 0x4
	global_load_b64 v[160:161], v[16:17], off offset:136
	global_load_b64 v[4:5], v[16:17], off offset:1136
	;; [unrolled: 1-line block ×5, first 2 shown]
	ds_load_2addr_b64 v[0:3], v254 offset0:92 offset1:217
	s_waitcnt vmcnt(4) lgkmcnt(0)
	v_mul_f32_e32 v6, v1, v161
	v_mul_f32_e32 v7, v0, v161
	s_waitcnt vmcnt(3)
	v_mul_f32_e32 v35, v2, v5
	s_delay_alu instid0(VALU_DEP_3) | instskip(NEXT) | instid1(VALU_DEP_3)
	v_fma_f32 v6, v0, v160, -v6
	v_dual_mul_f32 v0, v3, v5 :: v_dual_fmac_f32 v7, v1, v160
	s_delay_alu instid0(VALU_DEP_3) | instskip(NEXT) | instid1(VALU_DEP_2)
	v_fmac_f32_e32 v35, v3, v4
	v_fma_f32 v34, v2, v4, -v0
	ds_load_2addr_b64 v[0:3], v233 offset0:62 offset1:187
	s_waitcnt lgkmcnt(0)
	v_mul_f32_e32 v4, v1, v165
	v_dual_mul_f32 v5, v0, v165 :: v_dual_mul_f32 v70, v2, v167
	s_delay_alu instid0(VALU_DEP_2) | instskip(NEXT) | instid1(VALU_DEP_2)
	v_fma_f32 v4, v0, v164, -v4
	v_dual_mul_f32 v0, v3, v167 :: v_dual_fmac_f32 v5, v1, v164
	s_delay_alu instid0(VALU_DEP_3) | instskip(NEXT) | instid1(VALU_DEP_2)
	v_fmac_f32_e32 v70, v3, v166
	v_fma_f32 v69, v2, v166, -v0
	ds_load_2addr_b64 v[0:3], v249 offset0:116 offset1:241
	s_waitcnt lgkmcnt(0)
	v_mul_f32_e32 v36, v3, v29
	v_mul_f32_e32 v161, v2, v29
	;; [unrolled: 1-line block ×3, first 2 shown]
	s_delay_alu instid0(VALU_DEP_3) | instskip(NEXT) | instid1(VALU_DEP_3)
	v_fma_f32 v160, v2, v28, -v36
	v_dual_mul_f32 v2, v1, v25 :: v_dual_fmac_f32 v161, v3, v28
	s_delay_alu instid0(VALU_DEP_3) | instskip(NEXT) | instid1(VALU_DEP_2)
	v_fmac_f32_e32 v29, v1, v24
	v_fma_f32 v28, v0, v24, -v2
	ds_load_2addr_b64 v[0:3], v222 offset0:104 offset1:229
	s_waitcnt vmcnt(1) lgkmcnt(0)
	v_mul_f32_e32 v24, v1, v19
	v_mul_f32_e32 v25, v0, v19
	v_mul_f32_e32 v19, v2, v153
	s_delay_alu instid0(VALU_DEP_3) | instskip(NEXT) | instid1(VALU_DEP_3)
	v_fma_f32 v24, v0, v18, -v24
	v_dual_mul_f32 v0, v3, v153 :: v_dual_fmac_f32 v25, v1, v18
	s_delay_alu instid0(VALU_DEP_3) | instskip(NEXT) | instid1(VALU_DEP_2)
	v_fmac_f32_e32 v19, v3, v152
	v_fma_f32 v18, v2, v152, -v0
	ds_load_2addr_b64 v[0:3], v234 offset0:86 offset1:211
	s_waitcnt vmcnt(0) lgkmcnt(0)
	v_mul_f32_e32 v36, v3, v17
	v_mul_f32_e32 v153, v2, v17
	;; [unrolled: 1-line block ×3, first 2 shown]
	s_delay_alu instid0(VALU_DEP_3) | instskip(NEXT) | instid1(VALU_DEP_3)
	v_fma_f32 v152, v2, v16, -v36
	v_dual_mul_f32 v2, v1, v31 :: v_dual_fmac_f32 v153, v3, v16
	s_delay_alu instid0(VALU_DEP_3) | instskip(NEXT) | instid1(VALU_DEP_2)
	v_fmac_f32_e32 v17, v1, v30
	v_fma_f32 v16, v0, v30, -v2
	ds_load_2addr_b64 v[0:3], v255 offset0:74 offset1:199
	s_waitcnt lgkmcnt(0)
	v_mul_f32_e32 v30, v1, v11
	v_mul_f32_e32 v31, v0, v11
	s_delay_alu instid0(VALU_DEP_2) | instskip(NEXT) | instid1(VALU_DEP_2)
	v_fma_f32 v30, v0, v10, -v30
	v_dual_mul_f32 v0, v3, v23 :: v_dual_fmac_f32 v31, v1, v10
	v_mul_f32_e32 v1, v2, v23
	v_mov_b32_e32 v245, v44
	s_delay_alu instid0(VALU_DEP_3) | instskip(NEXT) | instid1(VALU_DEP_3)
	v_fma_f32 v0, v2, v22, -v0
	v_dual_fmac_f32 v1, v3, v22 :: v_dual_add_nc_u32 v2, 0x1000, v224
	ds_store_2addr_b64 v2, v[160:161], v[162:163] offset0:113 offset1:238
	v_add_nc_u32_e32 v2, 0x3800, v224
	ds_store_2addr_b64 v2, v[152:153], v[26:27] offset0:83 offset1:208
	v_add_nc_u32_e32 v2, 0x1800, v224
	;; [unrolled: 2-line block ×6, first 2 shown]
	ds_store_2addr_b64 v2, v[0:1], v[168:169] offset0:71 offset1:196
	global_load_b64 v[0:1], v[156:157], off offset:3944
	ds_load_b64 v[2:3], v224 offset:24000
	ds_store_2addr_b64 v224, v[32:33], v[170:171] offset0:125 offset1:250
	ds_store_2addr_b64 v44, v[20:21], v[6:7] offset0:95 offset1:220
	;; [unrolled: 1-line block ×4, first 2 shown]
	s_waitcnt vmcnt(0) lgkmcnt(4)
	v_mul_f32_e32 v8, v3, v1
	v_mul_f32_e32 v9, v2, v1
	s_delay_alu instid0(VALU_DEP_2) | instskip(NEXT) | instid1(VALU_DEP_2)
	v_fma_f32 v8, v2, v0, -v8
	v_fmac_f32_e32 v9, v3, v0
	ds_store_2addr_b64 v40, v[69:70], v[8:9] offset0:59 offset1:184
	s_waitcnt lgkmcnt(0)
	s_barrier
	buffer_gl0_inv
	ds_load_2addr_b64 v[152:155], v249 offset0:116 offset1:241
	ds_load_2addr_b64 v[160:163], v172 offset0:98 offset1:223
	;; [unrolled: 1-line block ×4, first 2 shown]
	ds_load_2addr_b64 v[164:167], v224 offset1:125
	v_mov_b32_e32 v70, v37
	s_waitcnt lgkmcnt(3)
	v_sub_f32_e32 v0, v154, v160
	s_waitcnt lgkmcnt(1)
	v_dual_sub_f32 v38, v161, v159 :: v_dual_sub_f32 v1, v168, v158
	v_dual_sub_f32 v39, v155, v169 :: v_dual_sub_f32 v40, v160, v158
	v_sub_f32_e32 v41, v154, v168
	s_delay_alu instid0(VALU_DEP_3) | instskip(SKIP_2) | instid1(VALU_DEP_1)
	v_dual_mov_b32 v233, v46 :: v_dual_add_f32 v36, v0, v1
	s_waitcnt lgkmcnt(0)
	v_dual_add_f32 v0, v164, v154 :: v_dual_add_f32 v1, v165, v155
	v_dual_add_f32 v0, v0, v160 :: v_dual_add_f32 v1, v1, v161
	s_delay_alu instid0(VALU_DEP_1) | instskip(NEXT) | instid1(VALU_DEP_1)
	v_dual_add_f32 v0, v0, v158 :: v_dual_add_f32 v1, v1, v159
	v_dual_add_f32 v24, v0, v168 :: v_dual_add_f32 v25, v1, v169
	;; [unrolled: 1-line block ×3, first 2 shown]
	s_delay_alu instid0(VALU_DEP_1) | instskip(NEXT) | instid1(VALU_DEP_2)
	v_fma_f32 v26, -0.5, v0, v164
	v_fma_f32 v27, -0.5, v1, v165
	v_dual_sub_f32 v0, v155, v161 :: v_dual_sub_f32 v1, v169, v159
	s_delay_alu instid0(VALU_DEP_3) | instskip(NEXT) | instid1(VALU_DEP_3)
	v_fmamk_f32 v32, v39, 0xbf737871, v26
	v_dual_fmamk_f32 v33, v41, 0x3f737871, v27 :: v_dual_fmac_f32 v26, 0x3f737871, v39
	s_delay_alu instid0(VALU_DEP_3) | instskip(SKIP_4) | instid1(VALU_DEP_4)
	v_add_f32_e32 v37, v0, v1
	v_dual_sub_f32 v0, v160, v154 :: v_dual_sub_f32 v1, v158, v168
	v_fmac_f32_e32 v27, 0xbf737871, v41
	v_fmac_f32_e32 v32, 0xbf167918, v38
	v_dual_fmac_f32 v33, 0x3f167918, v40 :: v_dual_fmac_f32 v26, 0x3f167918, v38
	v_dual_add_f32 v0, v0, v1 :: v_dual_add_f32 v1, v154, v168
	s_delay_alu instid0(VALU_DEP_4) | instskip(NEXT) | instid1(VALU_DEP_3)
	v_fmac_f32_e32 v27, 0xbf167918, v40
	v_dual_fmac_f32 v32, 0x3e9e377a, v36 :: v_dual_fmac_f32 v33, 0x3e9e377a, v37
	s_delay_alu instid0(VALU_DEP_4) | instskip(NEXT) | instid1(VALU_DEP_4)
	v_fmac_f32_e32 v26, 0x3e9e377a, v36
	v_fma_f32 v28, -0.5, v1, v164
	v_dual_sub_f32 v1, v159, v169 :: v_dual_mov_b32 v164, v42
	v_fmac_f32_e32 v27, 0x3e9e377a, v37
	s_delay_alu instid0(VALU_DEP_3) | instskip(SKIP_1) | instid1(VALU_DEP_2)
	v_fmamk_f32 v30, v38, 0x3f737871, v28
	v_fmac_f32_e32 v28, 0xbf737871, v38
	v_fmac_f32_e32 v30, 0xbf167918, v39
	s_delay_alu instid0(VALU_DEP_2) | instskip(NEXT) | instid1(VALU_DEP_2)
	v_fmac_f32_e32 v28, 0x3f167918, v39
	v_fmac_f32_e32 v30, 0x3e9e377a, v0
	s_delay_alu instid0(VALU_DEP_2) | instskip(SKIP_1) | instid1(VALU_DEP_1)
	v_fmac_f32_e32 v28, 0x3e9e377a, v0
	v_add_f32_e32 v0, v155, v169
	v_fma_f32 v29, -0.5, v0, v165
	v_sub_f32_e32 v0, v161, v155
	v_mov_b32_e32 v165, v45
	s_delay_alu instid0(VALU_DEP_3) | instskip(NEXT) | instid1(VALU_DEP_3)
	v_fmamk_f32 v31, v40, 0xbf737871, v29
	v_dual_fmac_f32 v29, 0x3f737871, v40 :: v_dual_add_f32 v0, v0, v1
	s_delay_alu instid0(VALU_DEP_2) | instskip(NEXT) | instid1(VALU_DEP_2)
	v_fmac_f32_e32 v31, 0x3f167918, v41
	v_fmac_f32_e32 v29, 0xbf167918, v41
	s_delay_alu instid0(VALU_DEP_2) | instskip(NEXT) | instid1(VALU_DEP_2)
	v_fmac_f32_e32 v31, 0x3e9e377a, v0
	v_fmac_f32_e32 v29, 0x3e9e377a, v0
	ds_load_b64 v[34:35], v224 offset:24000
	ds_load_2addr_b64 v[0:3], v246 offset0:110 offset1:235
	ds_load_2addr_b64 v[4:7], v42 offset0:80 offset1:205
	;; [unrolled: 1-line block ×7, first 2 shown]
	s_waitcnt lgkmcnt(0)
	s_barrier
	buffer_gl0_inv
	scratch_load_b32 v42, off, off offset:184 ; 4-byte Folded Reload
	s_waitcnt vmcnt(0)
	ds_store_2addr_b64 v42, v[24:25], v[32:33] offset1:1
	ds_store_2addr_b64 v42, v[30:31], v[28:29] offset0:2 offset1:3
	ds_store_b64 v42, v[26:27] offset:32
	v_dual_add_f32 v29, v163, v5 :: v_dual_sub_f32 v32, v0, v162
	v_dual_sub_f32 v42, v170, v4 :: v_dual_add_f32 v25, v167, v1
	v_dual_sub_f32 v30, v163, v1 :: v_dual_sub_f32 v33, v1, v163
	v_sub_f32_e32 v38, v1, v171
	v_add_f32_e32 v39, v1, v171
	v_fma_f32 v1, -0.5, v29, v167
	v_add_f32_e32 v29, v32, v42
	scratch_load_b32 v32, off, off offset:180 ; 4-byte Folded Reload
	v_add_f32_e32 v24, v166, v0
	v_add_f32_e32 v26, v162, v4
	v_dual_add_f32 v36, v0, v170 :: v_dual_sub_f32 v27, v162, v0
	v_sub_f32_e32 v28, v163, v5
	s_delay_alu instid0(VALU_DEP_4)
	v_add_f32_e32 v24, v24, v162
	v_sub_f32_e32 v41, v0, v170
	v_fma_f32 v0, -0.5, v26, v166
	v_fma_f32 v166, -0.5, v36, v166
	v_add_f32_e32 v25, v25, v163
	v_sub_f32_e32 v31, v162, v4
	v_add_f32_e32 v24, v24, v4
	v_sub_f32_e32 v37, v4, v170
	v_fmamk_f32 v4, v28, 0x3f737871, v166
	v_fmac_f32_e32 v166, 0xbf737871, v28
	v_dual_mov_b32 v234, v43 :: v_dual_add_f32 v25, v25, v5
	v_dual_sub_f32 v40, v5, v171 :: v_dual_sub_f32 v43, v171, v5
	v_add_f32_e32 v5, v27, v37
	v_dual_fmac_f32 v167, -0.5, v39 :: v_dual_fmac_f32 v4, 0xbf167918, v38
	v_fmac_f32_e32 v166, 0x3f167918, v38
	s_delay_alu instid0(VALU_DEP_4) | instskip(SKIP_1) | instid1(VALU_DEP_4)
	v_dual_add_f32 v26, v30, v40 :: v_dual_fmamk_f32 v27, v41, 0x3f737871, v1
	v_fmac_f32_e32 v1, 0xbf737871, v41
	v_fmac_f32_e32 v4, 0x3e9e377a, v5
	s_delay_alu instid0(VALU_DEP_4)
	v_fmac_f32_e32 v166, 0x3e9e377a, v5
	v_fmamk_f32 v5, v31, 0xbf737871, v167
	v_fmac_f32_e32 v167, 0x3f737871, v31
	v_add_f32_e32 v30, v33, v43
	v_fmac_f32_e32 v1, 0xbf167918, v31
	v_fmac_f32_e32 v27, 0x3f167918, v31
	;; [unrolled: 1-line block ×3, first 2 shown]
	v_dual_fmac_f32 v167, 0xbf167918, v41 :: v_dual_add_f32 v24, v24, v170
	s_delay_alu instid0(VALU_DEP_4) | instskip(SKIP_1) | instid1(VALU_DEP_4)
	v_fmac_f32_e32 v1, 0x3e9e377a, v30
	v_add_f32_e32 v25, v25, v171
	v_fmac_f32_e32 v5, 0x3e9e377a, v26
	s_delay_alu instid0(VALU_DEP_4) | instskip(SKIP_4) | instid1(VALU_DEP_4)
	v_fmac_f32_e32 v167, 0x3e9e377a, v26
	v_fmamk_f32 v26, v38, 0xbf737871, v0
	v_fmac_f32_e32 v0, 0x3f737871, v38
	v_fmac_f32_e32 v27, 0x3e9e377a, v30
	v_dual_sub_f32 v33, v158, v6 :: v_dual_add_f32 v30, v159, v7
	v_fmac_f32_e32 v26, 0xbf167918, v28
	s_delay_alu instid0(VALU_DEP_4) | instskip(SKIP_1) | instid1(VALU_DEP_3)
	v_fmac_f32_e32 v0, 0x3f167918, v28
	v_dual_add_f32 v28, v3, v13 :: v_dual_sub_f32 v31, v13, v7
	v_fmac_f32_e32 v26, 0x3e9e377a, v29
	s_delay_alu instid0(VALU_DEP_3)
	v_fmac_f32_e32 v0, 0x3e9e377a, v29
	s_waitcnt vmcnt(0)
	ds_store_2addr_b64 v32, v[4:5], v[166:167] offset0:2 offset1:3
	ds_store_2addr_b64 v32, v[24:25], v[26:27] offset1:1
	ds_store_b64 v32, v[0:1] offset:32
	v_dual_add_f32 v1, v8, v2 :: v_dual_add_f32 v4, v9, v3
	v_sub_f32_e32 v0, v2, v158
	v_sub_f32_e32 v25, v2, v12
	v_add_f32_e32 v26, v2, v12
	v_sub_f32_e32 v27, v158, v2
	v_dual_add_f32 v1, v1, v158 :: v_dual_add_f32 v2, v4, v159
	v_sub_f32_e32 v5, v3, v159
	v_sub_f32_e32 v24, v3, v13
	;; [unrolled: 1-line block ×3, first 2 shown]
	s_delay_alu instid0(VALU_DEP_4) | instskip(SKIP_4) | instid1(VALU_DEP_4)
	v_dual_add_f32 v1, v1, v6 :: v_dual_add_f32 v2, v2, v7
	v_sub_f32_e32 v3, v12, v6
	v_add_f32_e32 v4, v158, v6
	v_sub_f32_e32 v32, v159, v7
	v_dual_sub_f32 v6, v6, v12 :: v_dual_sub_f32 v7, v7, v13
	v_add_f32_e32 v36, v0, v3
	v_dual_add_f32 v0, v1, v12 :: v_dual_add_f32 v1, v2, v13
	v_fma_f32 v2, -0.5, v4, v8
	v_fma_f32 v4, -0.5, v26, v8
	v_dual_add_f32 v13, v27, v6 :: v_dual_add_f32 v12, v5, v31
	v_fma_f32 v5, -0.5, v28, v9
	v_add_f32_e32 v8, v29, v7
	s_delay_alu instid0(VALU_DEP_4)
	v_fmamk_f32 v6, v32, 0x3f737871, v4
	v_fmac_f32_e32 v4, 0xbf737871, v32
	v_fma_f32 v3, -0.5, v30, v9
	v_fmamk_f32 v7, v33, 0xbf737871, v5
	v_fmac_f32_e32 v5, 0x3f737871, v33
	v_fmac_f32_e32 v6, 0xbf167918, v24
	;; [unrolled: 1-line block ×3, first 2 shown]
	v_fmamk_f32 v9, v25, 0x3f737871, v3
	v_fmac_f32_e32 v7, 0x3f167918, v25
	v_fmac_f32_e32 v5, 0xbf167918, v25
	;; [unrolled: 1-line block ×4, first 2 shown]
	scratch_load_b32 v13, off, off offset:196 ; 4-byte Folded Reload
	v_fmac_f32_e32 v7, 0x3e9e377a, v8
	v_fmac_f32_e32 v5, 0x3e9e377a, v8
	v_fmamk_f32 v8, v24, 0xbf737871, v2
	v_fmac_f32_e32 v2, 0x3f737871, v24
	v_fmac_f32_e32 v3, 0xbf737871, v25
	v_dual_fmac_f32 v9, 0x3f167918, v33 :: v_dual_sub_f32 v24, v17, v15
	s_delay_alu instid0(VALU_DEP_4) | instskip(NEXT) | instid1(VALU_DEP_4)
	v_fmac_f32_e32 v8, 0xbf167918, v32
	v_fmac_f32_e32 v2, 0x3f167918, v32
	s_delay_alu instid0(VALU_DEP_4) | instskip(NEXT) | instid1(VALU_DEP_4)
	v_fmac_f32_e32 v3, 0xbf167918, v33
	v_fmac_f32_e32 v9, 0x3e9e377a, v12
	s_delay_alu instid0(VALU_DEP_4) | instskip(NEXT) | instid1(VALU_DEP_4)
	v_dual_sub_f32 v25, v21, v15 :: v_dual_fmac_f32 v8, 0x3e9e377a, v36
	v_fmac_f32_e32 v2, 0x3e9e377a, v36
	s_delay_alu instid0(VALU_DEP_4)
	v_fmac_f32_e32 v3, 0x3e9e377a, v12
	s_waitcnt vmcnt(0)
	ds_store_2addr_b64 v13, v[0:1], v[8:9] offset1:1
	ds_store_2addr_b64 v13, v[6:7], v[4:5] offset0:2 offset1:3
	ds_store_b64 v13, v[2:3] offset:32
	v_add_f32_e32 v2, v160, v20
	v_add_f32_e32 v8, v16, v14
	;; [unrolled: 1-line block ×3, first 2 shown]
	v_sub_f32_e32 v3, v160, v16
	v_sub_f32_e32 v9, v161, v21
	v_dual_add_f32 v4, v161, v21 :: v_dual_sub_f32 v13, v20, v14
	v_fma_f32 v2, -0.5, v2, v10
	v_fma_f32 v10, -0.5, v8, v10
	v_add_f32_e32 v1, v11, v17
	v_sub_f32_e32 v5, v161, v17
	v_sub_f32_e32 v7, v17, v161
	v_dual_add_f32 v17, v17, v15 :: v_dual_add_f32 v8, v3, v13
	v_fma_f32 v3, -0.5, v4, v11
	v_fmamk_f32 v4, v9, 0x3f737871, v10
	v_fmac_f32_e32 v10, 0xbf737871, v9
	s_delay_alu instid0(VALU_DEP_4) | instskip(SKIP_1) | instid1(VALU_DEP_4)
	v_dual_sub_f32 v12, v160, v20 :: v_dual_fmac_f32 v11, -0.5, v17
	v_sub_f32_e32 v6, v16, v160
	v_fmac_f32_e32 v4, 0xbf167918, v24
	s_delay_alu instid0(VALU_DEP_4) | instskip(SKIP_2) | instid1(VALU_DEP_4)
	v_fmac_f32_e32 v10, 0x3f167918, v24
	v_sub_f32_e32 v16, v16, v14
	v_dual_add_f32 v0, v0, v160 :: v_dual_add_f32 v1, v1, v161
	v_fmac_f32_e32 v4, 0x3e9e377a, v8
	s_delay_alu instid0(VALU_DEP_4) | instskip(SKIP_4) | instid1(VALU_DEP_4)
	v_fmac_f32_e32 v10, 0x3e9e377a, v8
	v_dual_add_f32 v8, v5, v25 :: v_dual_fmamk_f32 v5, v12, 0xbf737871, v11
	v_fmac_f32_e32 v11, 0x3f737871, v12
	v_dual_add_f32 v0, v0, v20 :: v_dual_add_f32 v1, v1, v21
	v_sub_f32_e32 v17, v19, v35
	v_fmac_f32_e32 v5, 0x3f167918, v16
	s_delay_alu instid0(VALU_DEP_4) | instskip(NEXT) | instid1(VALU_DEP_4)
	v_dual_fmac_f32 v11, 0xbf167918, v16 :: v_dual_mov_b32 v168, v254
	v_dual_add_f32 v0, v0, v14 :: v_dual_add_f32 v1, v1, v15
	s_delay_alu instid0(VALU_DEP_3) | instskip(NEXT) | instid1(VALU_DEP_3)
	v_fmac_f32_e32 v5, 0x3e9e377a, v8
	v_fmac_f32_e32 v11, 0x3e9e377a, v8
	scratch_load_b32 v8, off, off offset:192 ; 4-byte Folded Reload
	v_dual_sub_f32 v14, v14, v20 :: v_dual_sub_f32 v15, v15, v21
	v_dual_sub_f32 v21, v157, v23 :: v_dual_sub_f32 v20, v18, v156
	v_sub_f32_e32 v26, v34, v22
	s_delay_alu instid0(VALU_DEP_3) | instskip(SKIP_3) | instid1(VALU_DEP_3)
	v_dual_add_f32 v13, v6, v14 :: v_dual_add_f32 v14, v7, v15
	v_fmamk_f32 v6, v24, 0xbf737871, v2
	v_dual_fmamk_f32 v7, v16, 0x3f737871, v3 :: v_dual_fmac_f32 v2, 0x3f737871, v24
	v_fmac_f32_e32 v3, 0xbf737871, v16
	v_dual_sub_f32 v15, v18, v34 :: v_dual_fmac_f32 v6, 0xbf167918, v9
	s_delay_alu instid0(VALU_DEP_3) | instskip(NEXT) | instid1(VALU_DEP_3)
	v_dual_fmac_f32 v7, 0x3f167918, v12 :: v_dual_fmac_f32 v2, 0x3f167918, v9
	v_fmac_f32_e32 v3, 0xbf167918, v12
	s_delay_alu instid0(VALU_DEP_2)
	v_dual_fmac_f32 v6, 0x3e9e377a, v13 :: v_dual_fmac_f32 v7, 0x3e9e377a, v14
	s_waitcnt vmcnt(0)
	ds_store_2addr_b64 v8, v[4:5], v[10:11] offset0:2 offset1:3
	ds_store_2addr_b64 v8, v[0:1], v[6:7] offset1:1
	v_fmac_f32_e32 v2, 0x3e9e377a, v13
	scratch_load_b32 v13, off, off offset:188 ; 4-byte Folded Reload
	v_add_f32_e32 v1, v157, v23
	v_add_f32_e32 v4, v19, v35
	;; [unrolled: 1-line block ×3, first 2 shown]
	v_sub_f32_e32 v5, v23, v35
	v_mov_b32_e32 v27, v8
	v_fma_f32 v1, -0.5, v1, v153
	v_dual_fmac_f32 v153, -0.5, v4 :: v_dual_sub_f32 v4, v157, v19
	v_add_f32_e32 v8, v152, v18
	v_sub_f32_e32 v11, v156, v22
	v_fmac_f32_e32 v3, 0x3e9e377a, v14
	v_add_f32_e32 v0, v156, v22
	v_dual_add_f32 v10, v4, v5 :: v_dual_add_f32 v5, v18, v34
	v_add_f32_e32 v8, v8, v156
	v_fmamk_f32 v4, v11, 0xbf737871, v153
	v_dual_fmac_f32 v153, 0x3f737871, v11 :: v_dual_sub_f32 v18, v156, v18
	s_delay_alu instid0(VALU_DEP_4) | instskip(NEXT) | instid1(VALU_DEP_4)
	v_fma_f32 v5, -0.5, v5, v152
	v_add_f32_e32 v8, v8, v22
	v_sub_f32_e32 v22, v22, v34
	ds_store_b64 v27, v[2:3] offset:32
	v_fma_f32 v0, -0.5, v0, v152
	v_fmamk_f32 v3, v21, 0x3f737871, v5
	v_fmac_f32_e32 v5, 0xbf737871, v21
	v_fmac_f32_e32 v153, 0xbf167918, v15
	v_add_f32_e32 v7, v7, v157
	v_add_f32_e32 v9, v18, v22
	v_fmac_f32_e32 v3, 0xbf167918, v17
	v_dual_fmac_f32 v5, 0x3f167918, v17 :: v_dual_fmac_f32 v4, 0x3f167918, v15
	v_fmac_f32_e32 v153, 0x3e9e377a, v10
	v_sub_f32_e32 v19, v19, v157
	v_add_f32_e32 v25, v7, v23
	v_sub_f32_e32 v23, v35, v23
	v_fmac_f32_e32 v3, 0x3e9e377a, v9
	v_dual_fmac_f32 v5, 0x3e9e377a, v9 :: v_dual_fmac_f32 v4, 0x3e9e377a, v10
	v_fmamk_f32 v9, v17, 0xbf737871, v0
	v_fmamk_f32 v10, v15, 0x3f737871, v1
	v_fmac_f32_e32 v0, 0x3f737871, v17
	v_dual_fmac_f32 v1, 0xbf737871, v15 :: v_dual_add_f32 v2, v20, v26
	s_delay_alu instid0(VALU_DEP_4) | instskip(NEXT) | instid1(VALU_DEP_4)
	v_dual_add_f32 v12, v19, v23 :: v_dual_fmac_f32 v9, 0xbf167918, v21
	v_fmac_f32_e32 v10, 0x3f167918, v11
	s_delay_alu instid0(VALU_DEP_4) | instskip(NEXT) | instid1(VALU_DEP_4)
	v_fmac_f32_e32 v0, 0x3f167918, v21
	v_fmac_f32_e32 v1, 0xbf167918, v11
	v_dual_add_f32 v7, v8, v34 :: v_dual_add_f32 v8, v25, v35
	s_delay_alu instid0(VALU_DEP_4) | instskip(NEXT) | instid1(VALU_DEP_3)
	v_dual_fmac_f32 v9, 0x3e9e377a, v2 :: v_dual_fmac_f32 v10, 0x3e9e377a, v12
	v_dual_fmac_f32 v0, 0x3e9e377a, v2 :: v_dual_fmac_f32 v1, 0x3e9e377a, v12
	v_mov_b32_e32 v6, v153
	s_waitcnt vmcnt(0)
	ds_store_2addr_b64 v13, v[7:8], v[9:10] offset1:1
	ds_store_2addr_b64 v13, v[3:4], v[5:6] offset0:2 offset1:3
	ds_store_b64 v13, v[0:1] offset:32
	s_waitcnt lgkmcnt(0)
	s_barrier
	buffer_gl0_inv
	ds_load_b64 v[0:1], v224 offset:24000
	ds_load_2addr_b64 v[8:11], v249 offset0:116 offset1:241
	s_waitcnt lgkmcnt(1)
	v_mul_f32_e32 v152, v111, v1
	s_delay_alu instid0(VALU_DEP_1) | instskip(SKIP_1) | instid1(VALU_DEP_1)
	v_fmac_f32_e32 v152, v110, v0
	v_mul_f32_e32 v0, v111, v0
	v_fma_f32 v110, v110, v1, -v0
	ds_load_2addr_b64 v[0:3], v255 offset0:74 offset1:199
	s_waitcnt lgkmcnt(0)
	v_mul_f32_e32 v111, v109, v3
	s_delay_alu instid0(VALU_DEP_1) | instskip(SKIP_2) | instid1(VALU_DEP_2)
	v_fmac_f32_e32 v111, v108, v2
	v_mul_f32_e32 v2, v109, v2
	v_mul_f32_e32 v109, v105, v1
	v_fma_f32 v108, v108, v3, -v2
	s_delay_alu instid0(VALU_DEP_2) | instskip(SKIP_1) | instid1(VALU_DEP_1)
	v_fmac_f32_e32 v109, v104, v0
	v_mul_f32_e32 v0, v105, v0
	v_fma_f32 v104, v104, v1, -v0
	ds_load_2addr_b64 v[0:3], v45 offset0:62 offset1:187
	s_waitcnt lgkmcnt(0)
	v_mul_f32_e32 v105, v107, v3
	s_delay_alu instid0(VALU_DEP_1) | instskip(SKIP_2) | instid1(VALU_DEP_2)
	v_fmac_f32_e32 v105, v106, v2
	v_mul_f32_e32 v2, v107, v2
	v_mul_f32_e32 v107, v103, v1
	v_fma_f32 v106, v106, v3, -v2
	s_delay_alu instid0(VALU_DEP_2) | instskip(SKIP_1) | instid1(VALU_DEP_1)
	v_fmac_f32_e32 v107, v102, v0
	v_mul_f32_e32 v0, v103, v0
	v_fma_f32 v102, v102, v1, -v0
	ds_load_2addr_b64 v[0:3], v164 offset0:80 offset1:205
	s_waitcnt lgkmcnt(0)
	v_mul_f32_e32 v103, v101, v3
	v_mul_f32_e32 v153, v218, v1
	s_delay_alu instid0(VALU_DEP_2) | instskip(SKIP_1) | instid1(VALU_DEP_3)
	v_fmac_f32_e32 v103, v100, v2
	v_mul_f32_e32 v2, v101, v2
	v_fmac_f32_e32 v153, v217, v0
	v_mul_f32_e32 v0, v218, v0
	s_delay_alu instid0(VALU_DEP_3) | instskip(NEXT) | instid1(VALU_DEP_2)
	v_fma_f32 v100, v100, v3, -v2
	v_fma_f32 v101, v217, v1, -v0
	ds_load_2addr_b64 v[0:3], v235 offset0:68 offset1:193
	s_waitcnt lgkmcnt(0)
	v_mul_f32_e32 v154, v220, v3
	v_mul_f32_e32 v20, v228, v1
	s_delay_alu instid0(VALU_DEP_2) | instskip(SKIP_1) | instid1(VALU_DEP_3)
	v_fmac_f32_e32 v154, v219, v2
	v_mul_f32_e32 v2, v220, v2
	v_fmac_f32_e32 v20, v227, v0
	v_mul_f32_e32 v0, v228, v0
	s_delay_alu instid0(VALU_DEP_3) | instskip(NEXT) | instid1(VALU_DEP_2)
	v_fma_f32 v155, v219, v3, -v2
	v_fma_f32 v21, v227, v1, -v0
	ds_load_2addr_b64 v[0:3], v70 offset0:86 offset1:211
	s_waitcnt lgkmcnt(0)
	v_dual_mul_f32 v22, v226, v3 :: v_dual_mul_f32 v17, v99, v1
	s_delay_alu instid0(VALU_DEP_1) | instskip(SKIP_1) | instid1(VALU_DEP_3)
	v_fmac_f32_e32 v22, v225, v2
	v_mul_f32_e32 v2, v226, v2
	v_fmac_f32_e32 v17, v98, v0
	v_mul_f32_e32 v0, v99, v0
	s_delay_alu instid0(VALU_DEP_3) | instskip(NEXT) | instid1(VALU_DEP_2)
	v_fma_f32 v23, v225, v3, -v2
	v_fma_f32 v16, v98, v1, -v0
	ds_load_2addr_b64 v[0:3], v222 offset0:104 offset1:229
	s_waitcnt lgkmcnt(0)
	v_mul_f32_e32 v19, v97, v3
	s_delay_alu instid0(VALU_DEP_1) | instskip(SKIP_1) | instid1(VALU_DEP_1)
	v_fmac_f32_e32 v19, v96, v2
	v_mul_f32_e32 v2, v97, v2
	v_fma_f32 v18, v96, v3, -v2
	v_mul_f32_e32 v96, v93, v1
	s_delay_alu instid0(VALU_DEP_1) | instskip(SKIP_2) | instid1(VALU_DEP_2)
	v_fmac_f32_e32 v96, v92, v0
	v_mul_f32_e32 v0, v93, v0
	v_mul_f32_e32 v26, v242, v11
	v_fma_f32 v92, v92, v1, -v0
	ds_load_2addr_b64 v[0:3], v254 offset0:92 offset1:217
	v_fmac_f32_e32 v26, v241, v10
	s_waitcnt lgkmcnt(0)
	s_delay_alu instid0(VALU_DEP_1) | instskip(NEXT) | instid1(VALU_DEP_1)
	v_dual_sub_f32 v160, v26, v20 :: v_dual_mul_f32 v97, v95, v3
	v_fmac_f32_e32 v97, v94, v2
	v_mul_f32_e32 v2, v95, v2
	s_delay_alu instid0(VALU_DEP_1) | instskip(SKIP_1) | instid1(VALU_DEP_1)
	v_fma_f32 v93, v94, v3, -v2
	v_mul_f32_e32 v94, v91, v1
	v_fmac_f32_e32 v94, v90, v0
	v_mul_f32_e32 v0, v91, v0
	s_delay_alu instid0(VALU_DEP_1) | instskip(SKIP_4) | instid1(VALU_DEP_2)
	v_fma_f32 v90, v90, v1, -v0
	ds_load_2addr_b64 v[0:3], v246 offset0:110 offset1:235
	s_waitcnt lgkmcnt(0)
	v_mul_f32_e32 v91, v89, v3
	v_mul_f32_e32 v95, v230, v1
	v_fmac_f32_e32 v91, v88, v2
	v_mul_f32_e32 v2, v89, v2
	s_delay_alu instid0(VALU_DEP_3) | instskip(SKIP_1) | instid1(VALU_DEP_3)
	v_fmac_f32_e32 v95, v229, v0
	v_mul_f32_e32 v0, v230, v0
	v_fma_f32 v88, v88, v3, -v2
	s_delay_alu instid0(VALU_DEP_2) | instskip(SKIP_3) | instid1(VALU_DEP_1)
	v_fma_f32 v89, v229, v1, -v0
	ds_load_2addr_b64 v[0:3], v172 offset0:98 offset1:223
	s_waitcnt lgkmcnt(0)
	v_mul_f32_e32 v24, v244, v1
	v_dual_mul_f32 v99, v232, v3 :: v_dual_fmac_f32 v24, v243, v0
	s_delay_alu instid0(VALU_DEP_1) | instskip(SKIP_1) | instid1(VALU_DEP_3)
	v_dual_mul_f32 v0, v244, v0 :: v_dual_fmac_f32 v99, v231, v2
	v_mul_f32_e32 v2, v232, v2
	v_sub_f32_e32 v161, v24, v22
	s_delay_alu instid0(VALU_DEP_3) | instskip(SKIP_3) | instid1(VALU_DEP_4)
	v_fma_f32 v25, v243, v1, -v0
	v_mul_f32_e32 v0, v242, v10
	v_sub_f32_e32 v1, v20, v22
	v_fma_f32 v98, v231, v3, -v2
	v_sub_f32_e32 v158, v25, v23
	s_delay_alu instid0(VALU_DEP_4) | instskip(SKIP_2) | instid1(VALU_DEP_1)
	v_fma_f32 v27, v241, v11, -v0
	ds_load_2addr_b64 v[10:13], v224 offset1:125
	v_dual_sub_f32 v0, v26, v24 :: v_dual_sub_f32 v159, v27, v21
	v_add_f32_e32 v156, v0, v1
	s_waitcnt lgkmcnt(0)
	v_dual_add_f32 v0, v10, v26 :: v_dual_add_f32 v1, v11, v27
	s_delay_alu instid0(VALU_DEP_1) | instskip(NEXT) | instid1(VALU_DEP_1)
	v_dual_add_f32 v0, v0, v24 :: v_dual_add_f32 v1, v1, v25
	v_dual_add_f32 v0, v0, v22 :: v_dual_add_f32 v1, v1, v23
	s_delay_alu instid0(VALU_DEP_1) | instskip(SKIP_1) | instid1(VALU_DEP_1)
	v_dual_add_f32 v4, v0, v20 :: v_dual_add_f32 v5, v1, v21
	v_dual_add_f32 v0, v24, v22 :: v_dual_add_f32 v1, v25, v23
	v_fma_f32 v14, -0.5, v0, v10
	s_delay_alu instid0(VALU_DEP_2) | instskip(SKIP_1) | instid1(VALU_DEP_3)
	v_fma_f32 v15, -0.5, v1, v11
	v_dual_sub_f32 v0, v27, v25 :: v_dual_sub_f32 v1, v21, v23
	v_fmamk_f32 v6, v159, 0xbf737871, v14
	s_delay_alu instid0(VALU_DEP_3) | instskip(NEXT) | instid1(VALU_DEP_3)
	v_dual_fmamk_f32 v7, v160, 0x3f737871, v15 :: v_dual_fmac_f32 v14, 0x3f737871, v159
	v_add_f32_e32 v157, v0, v1
	ds_load_2addr_b64 v[0:3], v223 offset0:122 offset1:247
	s_waitcnt lgkmcnt(0)
	s_barrier
	buffer_gl0_inv
	scratch_load_b32 v254, off, off offset:216 ; 4-byte Folded Reload
	v_fmac_f32_e32 v6, 0xbf167918, v158
	v_fmac_f32_e32 v7, 0x3f167918, v161
	;; [unrolled: 1-line block ×4, first 2 shown]
	s_delay_alu instid0(VALU_DEP_3) | instskip(NEXT) | instid1(VALU_DEP_3)
	v_dual_fmac_f32 v6, 0x3e9e377a, v156 :: v_dual_fmac_f32 v7, 0x3e9e377a, v157
	v_fmac_f32_e32 v15, 0xbf167918, v161
	s_delay_alu instid0(VALU_DEP_1)
	v_dual_fmac_f32 v14, 0x3e9e377a, v156 :: v_dual_fmac_f32 v15, 0x3e9e377a, v157
	s_waitcnt vmcnt(0)
	ds_store_2addr_b64 v254, v[4:5], v[6:7] offset1:5
	v_dual_sub_f32 v4, v24, v26 :: v_dual_sub_f32 v5, v22, v20
	v_add_f32_e32 v6, v26, v20
	v_sub_f32_e32 v20, v25, v27
	ds_store_b64 v254, v[14:15] offset:160
	v_dual_sub_f32 v14, v101, v155 :: v_dual_add_f32 v7, v4, v5
	v_fma_f32 v4, -0.5, v6, v10
	v_add_f32_e32 v5, v27, v21
	v_sub_f32_e32 v21, v23, v21
	v_dual_sub_f32 v15, v98, v101 :: v_dual_sub_f32 v22, v95, v154
	s_delay_alu instid0(VALU_DEP_4) | instskip(SKIP_3) | instid1(VALU_DEP_4)
	v_fmamk_f32 v6, v158, 0x3f737871, v4
	v_fmac_f32_e32 v4, 0xbf737871, v158
	v_fma_f32 v5, -0.5, v5, v11
	v_add_f32_e32 v10, v20, v21
	v_dual_add_f32 v11, v13, v89 :: v_dual_fmac_f32 v6, 0xbf167918, v159
	s_delay_alu instid0(VALU_DEP_4)
	v_fmac_f32_e32 v4, 0x3f167918, v159
	v_dual_sub_f32 v20, v89, v155 :: v_dual_sub_f32 v21, v99, v153
	scratch_load_b32 v23, off, off offset:204 ; 4-byte Folded Reload
	v_fmac_f32_e32 v6, 0x3e9e377a, v7
	v_fmac_f32_e32 v4, 0x3e9e377a, v7
	v_fmamk_f32 v7, v161, 0xbf737871, v5
	v_fmac_f32_e32 v5, 0x3f737871, v161
	s_delay_alu instid0(VALU_DEP_2) | instskip(NEXT) | instid1(VALU_DEP_2)
	v_fmac_f32_e32 v7, 0x3f167918, v160
	v_fmac_f32_e32 v5, 0xbf167918, v160
	s_delay_alu instid0(VALU_DEP_2) | instskip(NEXT) | instid1(VALU_DEP_2)
	v_fmac_f32_e32 v7, 0x3e9e377a, v10
	v_dual_fmac_f32 v5, 0x3e9e377a, v10 :: v_dual_add_f32 v10, v12, v95
	ds_store_2addr_b64 v254, v[6:7], v[4:5] offset0:10 offset1:15
	v_add_f32_e32 v4, v99, v153
	v_add_f32_e32 v5, v95, v154
	v_sub_f32_e32 v6, v153, v154
	s_delay_alu instid0(VALU_DEP_3) | instskip(NEXT) | instid1(VALU_DEP_3)
	v_fma_f32 v4, -0.5, v4, v12
	v_fma_f32 v12, -0.5, v5, v12
	v_sub_f32_e32 v5, v99, v95
	s_delay_alu instid0(VALU_DEP_1) | instskip(SKIP_1) | instid1(VALU_DEP_1)
	v_add_f32_e32 v7, v5, v6
	v_dual_add_f32 v5, v98, v101 :: v_dual_add_f32 v6, v89, v155
	v_fma_f32 v5, -0.5, v5, v13
	s_delay_alu instid0(VALU_DEP_2) | instskip(NEXT) | instid1(VALU_DEP_1)
	v_dual_fmac_f32 v13, -0.5, v6 :: v_dual_sub_f32 v6, v98, v89
	v_add_f32_e32 v14, v6, v14
	v_fmamk_f32 v6, v15, 0x3f737871, v12
	v_fmac_f32_e32 v12, 0xbf737871, v15
	s_delay_alu instid0(VALU_DEP_2) | instskip(NEXT) | instid1(VALU_DEP_2)
	v_fmac_f32_e32 v6, 0xbf167918, v20
	v_fmac_f32_e32 v12, 0x3f167918, v20
	s_delay_alu instid0(VALU_DEP_2) | instskip(NEXT) | instid1(VALU_DEP_2)
	v_fmac_f32_e32 v6, 0x3e9e377a, v7
	v_fmac_f32_e32 v12, 0x3e9e377a, v7
	v_fmamk_f32 v7, v21, 0xbf737871, v13
	v_fmac_f32_e32 v13, 0x3f737871, v21
	s_delay_alu instid0(VALU_DEP_2) | instskip(NEXT) | instid1(VALU_DEP_2)
	v_fmac_f32_e32 v7, 0x3f167918, v22
	v_fmac_f32_e32 v13, 0xbf167918, v22
	s_delay_alu instid0(VALU_DEP_2) | instskip(NEXT) | instid1(VALU_DEP_2)
	v_fmac_f32_e32 v7, 0x3e9e377a, v14
	v_fmac_f32_e32 v13, 0x3e9e377a, v14
	scratch_load_b32 v14, off, off offset:200 ; 4-byte Folded Reload
	s_waitcnt vmcnt(0)
	ds_store_2addr_b64 v14, v[6:7], v[12:13] offset0:10 offset1:15
	v_sub_f32_e32 v12, v95, v99
	v_dual_add_f32 v6, v10, v99 :: v_dual_add_f32 v7, v11, v98
	v_dual_sub_f32 v10, v154, v153 :: v_dual_sub_f32 v11, v89, v98
	v_sub_f32_e32 v13, v155, v101
	s_delay_alu instid0(VALU_DEP_3) | instskip(NEXT) | instid1(VALU_DEP_3)
	v_add_f32_e32 v6, v6, v153
	v_dual_add_f32 v7, v7, v101 :: v_dual_add_f32 v12, v12, v10
	s_delay_alu instid0(VALU_DEP_3) | instskip(SKIP_2) | instid1(VALU_DEP_3)
	v_dual_fmamk_f32 v10, v20, 0xbf737871, v4 :: v_dual_add_f32 v13, v11, v13
	v_dual_fmamk_f32 v11, v22, 0x3f737871, v5 :: v_dual_fmac_f32 v4, 0x3f737871, v20
	v_fmac_f32_e32 v5, 0xbf737871, v22
	v_fmac_f32_e32 v10, 0xbf167918, v15
	v_add_f32_e32 v7, v7, v155
	s_delay_alu instid0(VALU_DEP_4) | instskip(NEXT) | instid1(VALU_DEP_4)
	v_dual_fmac_f32 v11, 0x3f167918, v21 :: v_dual_fmac_f32 v4, 0x3f167918, v15
	v_fmac_f32_e32 v5, 0xbf167918, v21
	s_delay_alu instid0(VALU_DEP_4) | instskip(NEXT) | instid1(VALU_DEP_3)
	v_fmac_f32_e32 v10, 0x3e9e377a, v12
	v_dual_sub_f32 v20, v91, v107 :: v_dual_fmac_f32 v11, 0x3e9e377a, v13
	s_delay_alu instid0(VALU_DEP_3)
	v_dual_fmac_f32 v4, 0x3e9e377a, v12 :: v_dual_fmac_f32 v5, 0x3e9e377a, v13
	v_sub_f32_e32 v15, v90, v100
	v_dual_sub_f32 v21, v94, v103 :: v_dual_sub_f32 v22, v100, v102
	ds_store_b64 v14, v[4:5] offset:160
	v_sub_f32_e32 v4, v91, v94
	v_sub_f32_e32 v5, v107, v103
	s_delay_alu instid0(VALU_DEP_1) | instskip(NEXT) | instid1(VALU_DEP_1)
	v_dual_add_f32 v12, v4, v5 :: v_dual_add_f32 v5, v1, v88
	v_dual_add_f32 v4, v0, v91 :: v_dual_add_f32 v5, v5, v90
	s_delay_alu instid0(VALU_DEP_1) | instskip(SKIP_1) | instid1(VALU_DEP_2)
	v_dual_add_f32 v4, v4, v94 :: v_dual_add_f32 v5, v5, v100
	v_add_f32_e32 v6, v6, v154
	v_dual_add_f32 v4, v4, v103 :: v_dual_add_f32 v5, v5, v102
	ds_store_2addr_b64 v14, v[6:7], v[10:11] offset1:5
	v_add_f32_e32 v6, v94, v103
	v_dual_add_f32 v7, v90, v100 :: v_dual_sub_f32 v10, v88, v90
	v_dual_sub_f32 v11, v102, v100 :: v_dual_sub_f32 v14, v88, v102
	s_delay_alu instid0(VALU_DEP_3) | instskip(NEXT) | instid1(VALU_DEP_3)
	v_fma_f32 v6, -0.5, v6, v0
	v_fma_f32 v7, -0.5, v7, v1
	v_add_f32_e32 v4, v4, v107
	s_delay_alu instid0(VALU_DEP_4) | instskip(NEXT) | instid1(VALU_DEP_4)
	v_add_f32_e32 v13, v10, v11
	v_fmamk_f32 v10, v14, 0xbf737871, v6
	s_delay_alu instid0(VALU_DEP_4) | instskip(SKIP_1) | instid1(VALU_DEP_3)
	v_dual_fmamk_f32 v11, v20, 0x3f737871, v7 :: v_dual_fmac_f32 v6, 0x3f737871, v14
	v_fmac_f32_e32 v7, 0xbf737871, v20
	v_fmac_f32_e32 v10, 0xbf167918, v15
	s_delay_alu instid0(VALU_DEP_3) | instskip(NEXT) | instid1(VALU_DEP_3)
	v_dual_fmac_f32 v11, 0x3f167918, v21 :: v_dual_fmac_f32 v6, 0x3f167918, v15
	v_fmac_f32_e32 v7, 0xbf167918, v21
	s_delay_alu instid0(VALU_DEP_2) | instskip(NEXT) | instid1(VALU_DEP_2)
	v_dual_fmac_f32 v10, 0x3e9e377a, v12 :: v_dual_fmac_f32 v11, 0x3e9e377a, v13
	v_dual_fmac_f32 v6, 0x3e9e377a, v12 :: v_dual_fmac_f32 v7, 0x3e9e377a, v13
	v_dual_sub_f32 v12, v92, v106 :: v_dual_sub_f32 v13, v97, v109
	ds_store_2addr_b64 v23, v[4:5], v[10:11] offset1:5
	v_sub_f32_e32 v4, v94, v91
	v_sub_f32_e32 v5, v103, v107
	v_dual_add_f32 v10, v91, v107 :: v_dual_add_f32 v11, v88, v102
	ds_store_b64 v23, v[6:7] offset:160
	v_add_f32_e32 v7, v3, v92
	v_dual_add_f32 v5, v4, v5 :: v_dual_sub_f32 v4, v90, v88
	v_fma_f32 v0, -0.5, v10, v0
	v_fma_f32 v1, -0.5, v11, v1
	s_delay_alu instid0(VALU_DEP_3) | instskip(NEXT) | instid1(VALU_DEP_3)
	v_dual_sub_f32 v11, v93, v104 :: v_dual_add_f32 v10, v4, v22
	v_fmamk_f32 v4, v15, 0x3f737871, v0
	v_fmac_f32_e32 v0, 0xbf737871, v15
	scratch_load_b32 v15, off, off offset:208 ; 4-byte Folded Reload
	v_fmac_f32_e32 v4, 0xbf167918, v14
	v_fmac_f32_e32 v0, 0x3f167918, v14
	s_delay_alu instid0(VALU_DEP_2) | instskip(NEXT) | instid1(VALU_DEP_2)
	v_fmac_f32_e32 v4, 0x3e9e377a, v5
	v_fmac_f32_e32 v0, 0x3e9e377a, v5
	v_fmamk_f32 v5, v21, 0xbf737871, v1
	v_dual_fmac_f32 v1, 0x3f737871, v21 :: v_dual_add_f32 v6, v2, v96
	s_delay_alu instid0(VALU_DEP_2) | instskip(NEXT) | instid1(VALU_DEP_2)
	v_dual_sub_f32 v14, v96, v105 :: v_dual_fmac_f32 v5, 0x3f167918, v20
	v_fmac_f32_e32 v1, 0xbf167918, v20
	s_delay_alu instid0(VALU_DEP_2) | instskip(NEXT) | instid1(VALU_DEP_2)
	v_fmac_f32_e32 v5, 0x3e9e377a, v10
	v_fmac_f32_e32 v1, 0x3e9e377a, v10
	v_sub_f32_e32 v10, v104, v106
	ds_store_2addr_b64 v23, v[4:5], v[0:1] offset0:10 offset1:15
	v_add_f32_e32 v0, v97, v109
	v_add_f32_e32 v1, v96, v105
	v_sub_f32_e32 v4, v109, v105
	s_delay_alu instid0(VALU_DEP_3) | instskip(NEXT) | instid1(VALU_DEP_3)
	v_fma_f32 v0, -0.5, v0, v2
	v_fma_f32 v2, -0.5, v1, v2
	v_sub_f32_e32 v1, v97, v96
	s_delay_alu instid0(VALU_DEP_1) | instskip(SKIP_1) | instid1(VALU_DEP_1)
	v_add_f32_e32 v5, v1, v4
	v_dual_add_f32 v1, v93, v104 :: v_dual_add_f32 v4, v92, v106
	v_fma_f32 v1, -0.5, v1, v3
	s_delay_alu instid0(VALU_DEP_2) | instskip(SKIP_1) | instid1(VALU_DEP_1)
	v_fmac_f32_e32 v3, -0.5, v4
	v_sub_f32_e32 v4, v93, v92
	v_add_f32_e32 v10, v4, v10
	v_fmamk_f32 v4, v11, 0x3f737871, v2
	v_fmac_f32_e32 v2, 0xbf737871, v11
	s_delay_alu instid0(VALU_DEP_2) | instskip(NEXT) | instid1(VALU_DEP_2)
	v_fmac_f32_e32 v4, 0xbf167918, v12
	v_fmac_f32_e32 v2, 0x3f167918, v12
	s_delay_alu instid0(VALU_DEP_2) | instskip(NEXT) | instid1(VALU_DEP_2)
	v_fmac_f32_e32 v4, 0x3e9e377a, v5
	v_fmac_f32_e32 v2, 0x3e9e377a, v5
	v_fmamk_f32 v5, v13, 0xbf737871, v3
	v_fmac_f32_e32 v3, 0x3f737871, v13
	s_delay_alu instid0(VALU_DEP_2) | instskip(NEXT) | instid1(VALU_DEP_2)
	v_fmac_f32_e32 v5, 0x3f167918, v14
	v_fmac_f32_e32 v3, 0xbf167918, v14
	s_delay_alu instid0(VALU_DEP_2) | instskip(NEXT) | instid1(VALU_DEP_2)
	v_fmac_f32_e32 v5, 0x3e9e377a, v10
	v_fmac_f32_e32 v3, 0x3e9e377a, v10
	s_waitcnt vmcnt(0)
	ds_store_2addr_b64 v15, v[4:5], v[2:3] offset0:10 offset1:15
	v_sub_f32_e32 v4, v96, v97
	v_sub_f32_e32 v5, v105, v109
	v_add_f32_e32 v2, v6, v97
	v_add_f32_e32 v3, v7, v93
	v_dual_sub_f32 v6, v92, v93 :: v_dual_sub_f32 v7, v106, v104
	s_delay_alu instid0(VALU_DEP_4) | instskip(SKIP_2) | instid1(VALU_DEP_3)
	v_dual_add_f32 v10, v4, v5 :: v_dual_fmamk_f32 v5, v14, 0x3f737871, v1
	v_dual_fmac_f32 v1, 0xbf737871, v14 :: v_dual_fmamk_f32 v4, v12, 0xbf737871, v0
	v_fmac_f32_e32 v0, 0x3f737871, v12
	v_dual_add_f32 v6, v6, v7 :: v_dual_fmac_f32 v5, 0x3f167918, v13
	s_delay_alu instid0(VALU_DEP_3)
	v_fmac_f32_e32 v1, 0xbf167918, v13
	scratch_load_b32 v13, off, off offset:212 ; 4-byte Folded Reload
	v_fmac_f32_e32 v0, 0x3f167918, v11
	v_dual_add_f32 v2, v2, v109 :: v_dual_add_f32 v3, v3, v104
	v_fmac_f32_e32 v4, 0xbf167918, v11
	v_fmac_f32_e32 v1, 0x3e9e377a, v6
	s_delay_alu instid0(VALU_DEP_4) | instskip(NEXT) | instid1(VALU_DEP_4)
	v_fmac_f32_e32 v0, 0x3e9e377a, v10
	v_dual_add_f32 v2, v2, v105 :: v_dual_add_f32 v3, v3, v106
	s_delay_alu instid0(VALU_DEP_4)
	v_fmac_f32_e32 v4, 0x3e9e377a, v10
	v_fmac_f32_e32 v5, 0x3e9e377a, v6
	ds_store_b64 v15, v[0:1] offset:160
	v_dual_add_f32 v0, v17, v111 :: v_dual_add_f32 v1, v19, v152
	v_sub_f32_e32 v6, v108, v110
	ds_store_2addr_b64 v15, v[2:3], v[4:5] offset1:5
	v_add_f32_e32 v4, v8, v19
	v_fma_f32 v0, -0.5, v0, v8
	v_fma_f32 v8, -0.5, v1, v8
	v_dual_sub_f32 v1, v17, v19 :: v_dual_sub_f32 v2, v111, v152
	v_add_f32_e32 v5, v9, v18
	v_dual_sub_f32 v7, v16, v108 :: v_dual_sub_f32 v10, v18, v110
	v_sub_f32_e32 v11, v17, v111
	s_delay_alu instid0(VALU_DEP_4) | instskip(SKIP_2) | instid1(VALU_DEP_2)
	v_add_f32_e32 v3, v1, v2
	v_dual_add_f32 v1, v16, v108 :: v_dual_add_f32 v2, v18, v110
	v_sub_f32_e32 v12, v19, v152
	v_fma_f32 v1, -0.5, v1, v9
	s_delay_alu instid0(VALU_DEP_3) | instskip(SKIP_1) | instid1(VALU_DEP_1)
	v_fmac_f32_e32 v9, -0.5, v2
	v_sub_f32_e32 v2, v16, v18
	v_add_f32_e32 v6, v2, v6
	v_fmamk_f32 v2, v7, 0x3f737871, v8
	v_fmac_f32_e32 v8, 0xbf737871, v7
	s_delay_alu instid0(VALU_DEP_2) | instskip(NEXT) | instid1(VALU_DEP_2)
	v_fmac_f32_e32 v2, 0xbf167918, v10
	v_fmac_f32_e32 v8, 0x3f167918, v10
	s_delay_alu instid0(VALU_DEP_2) | instskip(NEXT) | instid1(VALU_DEP_2)
	v_fmac_f32_e32 v2, 0x3e9e377a, v3
	v_fmac_f32_e32 v8, 0x3e9e377a, v3
	v_fmamk_f32 v3, v11, 0xbf737871, v9
	v_fmac_f32_e32 v9, 0x3f737871, v11
	s_delay_alu instid0(VALU_DEP_2) | instskip(NEXT) | instid1(VALU_DEP_2)
	v_fmac_f32_e32 v3, 0x3f167918, v12
	v_fmac_f32_e32 v9, 0xbf167918, v12
	s_delay_alu instid0(VALU_DEP_2) | instskip(NEXT) | instid1(VALU_DEP_2)
	v_fmac_f32_e32 v3, 0x3e9e377a, v6
	v_dual_fmac_f32 v9, 0x3e9e377a, v6 :: v_dual_sub_f32 v6, v19, v17
	s_waitcnt vmcnt(0)
	ds_store_2addr_b64 v13, v[2:3], v[8:9] offset0:10 offset1:15
	v_dual_add_f32 v2, v4, v17 :: v_dual_add_f32 v3, v5, v16
	v_dual_sub_f32 v4, v152, v111 :: v_dual_sub_f32 v5, v18, v16
	v_sub_f32_e32 v8, v110, v108
	s_delay_alu instid0(VALU_DEP_3) | instskip(NEXT) | instid1(VALU_DEP_3)
	v_dual_add_f32 v2, v2, v111 :: v_dual_add_f32 v3, v3, v108
	v_add_f32_e32 v6, v6, v4
	v_fmamk_f32 v4, v10, 0xbf737871, v0
	s_delay_alu instid0(VALU_DEP_4) | instskip(SKIP_2) | instid1(VALU_DEP_4)
	v_dual_add_f32 v8, v5, v8 :: v_dual_fmamk_f32 v5, v12, 0x3f737871, v1
	v_fmac_f32_e32 v0, 0x3f737871, v10
	v_fmac_f32_e32 v1, 0xbf737871, v12
	;; [unrolled: 1-line block ×3, first 2 shown]
	s_delay_alu instid0(VALU_DEP_4) | instskip(NEXT) | instid1(VALU_DEP_4)
	v_dual_add_f32 v2, v2, v152 :: v_dual_fmac_f32 v5, 0x3f167918, v11
	v_fmac_f32_e32 v0, 0x3f167918, v7
	s_delay_alu instid0(VALU_DEP_4) | instskip(SKIP_1) | instid1(VALU_DEP_4)
	v_fmac_f32_e32 v1, 0xbf167918, v11
	v_add_f32_e32 v3, v3, v110
	v_dual_fmac_f32 v4, 0x3e9e377a, v6 :: v_dual_fmac_f32 v5, 0x3e9e377a, v8
	s_delay_alu instid0(VALU_DEP_3)
	v_dual_fmac_f32 v0, 0x3e9e377a, v6 :: v_dual_fmac_f32 v1, 0x3e9e377a, v8
	ds_store_2addr_b64 v13, v[2:3], v[4:5] offset1:5
	ds_store_b64 v13, v[0:1] offset:160
	s_waitcnt lgkmcnt(0)
	s_barrier
	buffer_gl0_inv
	ds_load_b64 v[0:1], v224 offset:24000
	ds_load_2addr_b64 v[6:9], v224 offset1:125
	s_waitcnt lgkmcnt(1)
	v_mul_f32_e32 v12, v135, v1
	s_delay_alu instid0(VALU_DEP_1) | instskip(SKIP_1) | instid1(VALU_DEP_1)
	v_fmac_f32_e32 v12, v134, v0
	v_mul_f32_e32 v0, v135, v0
	v_fma_f32 v13, v134, v1, -v0
	ds_load_2addr_b64 v[0:3], v255 offset0:74 offset1:199
	s_waitcnt lgkmcnt(0)
	v_mul_f32_e32 v88, v129, v1
	v_mul_f32_e32 v14, v133, v3
	s_delay_alu instid0(VALU_DEP_2) | instskip(SKIP_1) | instid1(VALU_DEP_1)
	v_fmac_f32_e32 v88, v128, v0
	v_mul_f32_e32 v0, v129, v0
	v_fma_f32 v89, v128, v1, -v0
	s_delay_alu instid0(VALU_DEP_4) | instskip(SKIP_1) | instid1(VALU_DEP_1)
	v_fmac_f32_e32 v14, v132, v2
	v_mul_f32_e32 v2, v133, v2
	v_fma_f32 v15, v132, v3, -v2
	ds_load_2addr_b64 v[0:3], v45 offset0:62 offset1:187
	s_waitcnt lgkmcnt(0)
	v_mul_f32_e32 v90, v131, v3
	s_delay_alu instid0(VALU_DEP_1) | instskip(NEXT) | instid1(VALU_DEP_1)
	v_dual_mul_f32 v93, v127, v1 :: v_dual_fmac_f32 v90, v130, v2
	v_dual_mul_f32 v2, v131, v2 :: v_dual_fmac_f32 v93, v126, v0
	v_mul_f32_e32 v0, v127, v0
	s_delay_alu instid0(VALU_DEP_2) | instskip(NEXT) | instid1(VALU_DEP_2)
	v_fma_f32 v91, v130, v3, -v2
	v_fma_f32 v92, v126, v1, -v0
	ds_load_2addr_b64 v[0:3], v164 offset0:80 offset1:205
	s_waitcnt lgkmcnt(0)
	v_dual_mul_f32 v95, v125, v3 :: v_dual_mul_f32 v96, v202, v1
	s_delay_alu instid0(VALU_DEP_1) | instskip(SKIP_1) | instid1(VALU_DEP_3)
	v_fmac_f32_e32 v95, v124, v2
	v_mul_f32_e32 v2, v125, v2
	v_fmac_f32_e32 v96, v201, v0
	v_mul_f32_e32 v0, v202, v0
	s_delay_alu instid0(VALU_DEP_3) | instskip(NEXT) | instid1(VALU_DEP_2)
	v_fma_f32 v94, v124, v3, -v2
	v_fma_f32 v97, v201, v1, -v0
	ds_load_2addr_b64 v[0:3], v235 offset0:68 offset1:193
	s_waitcnt lgkmcnt(0)
	v_mul_f32_e32 v98, v204, v3
	v_mul_f32_e32 v102, v208, v1
	s_delay_alu instid0(VALU_DEP_2) | instskip(SKIP_1) | instid1(VALU_DEP_3)
	v_fmac_f32_e32 v98, v203, v2
	v_mul_f32_e32 v2, v204, v2
	v_fmac_f32_e32 v102, v207, v0
	v_mul_f32_e32 v0, v208, v0
	s_delay_alu instid0(VALU_DEP_3) | instskip(NEXT) | instid1(VALU_DEP_2)
	v_fma_f32 v99, v203, v3, -v2
	v_fma_f32 v101, v207, v1, -v0
	ds_load_2addr_b64 v[0:3], v70 offset0:86 offset1:211
	s_waitcnt lgkmcnt(0)
	v_mul_f32_e32 v104, v206, v3
	v_mul_f32_e32 v16, v123, v1
	s_delay_alu instid0(VALU_DEP_2) | instskip(SKIP_1) | instid1(VALU_DEP_3)
	v_fmac_f32_e32 v104, v205, v2
	v_mul_f32_e32 v2, v206, v2
	v_fmac_f32_e32 v16, v122, v0
	v_mul_f32_e32 v0, v123, v0
	s_delay_alu instid0(VALU_DEP_3) | instskip(NEXT) | instid1(VALU_DEP_2)
	v_fma_f32 v103, v205, v3, -v2
	v_fma_f32 v17, v122, v1, -v0
	ds_load_2addr_b64 v[0:3], v222 offset0:104 offset1:229
	s_waitcnt lgkmcnt(0)
	v_mul_f32_e32 v18, v121, v3
	v_mul_f32_e32 v24, v117, v1
	s_delay_alu instid0(VALU_DEP_2) | instskip(SKIP_1) | instid1(VALU_DEP_1)
	v_fmac_f32_e32 v18, v120, v2
	v_mul_f32_e32 v2, v121, v2
	v_fma_f32 v19, v120, v3, -v2
	s_delay_alu instid0(VALU_DEP_4) | instskip(SKIP_1) | instid1(VALU_DEP_1)
	v_fmac_f32_e32 v24, v116, v0
	v_mul_f32_e32 v0, v117, v0
	v_fma_f32 v25, v116, v1, -v0
	ds_load_2addr_b64 v[0:3], v168 offset0:92 offset1:217
	s_waitcnt lgkmcnt(0)
	v_mul_f32_e32 v26, v119, v3
	s_delay_alu instid0(VALU_DEP_1) | instskip(NEXT) | instid1(VALU_DEP_1)
	v_dual_mul_f32 v29, v115, v1 :: v_dual_fmac_f32 v26, v118, v2
	v_dual_mul_f32 v2, v119, v2 :: v_dual_fmac_f32 v29, v114, v0
	v_mul_f32_e32 v0, v115, v0
	s_delay_alu instid0(VALU_DEP_2) | instskip(NEXT) | instid1(VALU_DEP_2)
	v_fma_f32 v27, v118, v3, -v2
	v_fma_f32 v28, v114, v1, -v0
	ds_load_2addr_b64 v[0:3], v246 offset0:110 offset1:235
	s_waitcnt lgkmcnt(0)
	v_dual_mul_f32 v31, v113, v3 :: v_dual_mul_f32 v100, v214, v1
	s_delay_alu instid0(VALU_DEP_1) | instskip(SKIP_1) | instid1(VALU_DEP_3)
	v_fmac_f32_e32 v31, v112, v2
	v_mul_f32_e32 v2, v113, v2
	v_fmac_f32_e32 v100, v213, v0
	v_mul_f32_e32 v0, v214, v0
	s_delay_alu instid0(VALU_DEP_3) | instskip(NEXT) | instid1(VALU_DEP_2)
	v_fma_f32 v30, v112, v3, -v2
	v_fma_f32 v20, v213, v1, -v0
	ds_load_2addr_b64 v[0:3], v172 offset0:98 offset1:223
	s_waitcnt lgkmcnt(0)
	v_mul_f32_e32 v21, v216, v3
	s_delay_alu instid0(VALU_DEP_1) | instskip(SKIP_1) | instid1(VALU_DEP_2)
	v_dual_mul_f32 v106, v240, v1 :: v_dual_fmac_f32 v21, v215, v2
	v_mul_f32_e32 v2, v216, v2
	v_fmac_f32_e32 v106, v239, v0
	v_mul_f32_e32 v0, v240, v0
	s_delay_alu instid0(VALU_DEP_3) | instskip(NEXT) | instid1(VALU_DEP_3)
	v_fma_f32 v22, v215, v3, -v2
	v_sub_f32_e32 v39, v106, v104
	s_delay_alu instid0(VALU_DEP_3) | instskip(SKIP_4) | instid1(VALU_DEP_1)
	v_fma_f32 v105, v239, v1, -v0
	ds_load_2addr_b64 v[0:3], v249 offset0:116 offset1:241
	v_sub_f32_e32 v37, v105, v103
	s_waitcnt lgkmcnt(0)
	v_mul_f32_e32 v108, v238, v3
	v_fmac_f32_e32 v108, v237, v2
	v_mul_f32_e32 v2, v238, v2
	s_delay_alu instid0(VALU_DEP_2) | instskip(NEXT) | instid1(VALU_DEP_2)
	v_sub_f32_e32 v38, v108, v102
	v_fma_f32 v107, v237, v3, -v2
	v_dual_sub_f32 v2, v108, v106 :: v_dual_sub_f32 v3, v102, v104
	s_delay_alu instid0(VALU_DEP_1) | instskip(SKIP_1) | instid1(VALU_DEP_1)
	v_dual_sub_f32 v36, v107, v101 :: v_dual_add_f32 v23, v2, v3
	v_dual_add_f32 v2, v106, v104 :: v_dual_add_f32 v3, v105, v103
	v_fma_f32 v10, -0.5, v2, v6
	s_delay_alu instid0(VALU_DEP_2) | instskip(SKIP_1) | instid1(VALU_DEP_3)
	v_fma_f32 v11, -0.5, v3, v7
	v_dual_add_f32 v2, v6, v108 :: v_dual_add_f32 v3, v7, v107
	v_fmamk_f32 v34, v36, 0xbf737871, v10
	s_delay_alu instid0(VALU_DEP_3) | instskip(NEXT) | instid1(VALU_DEP_3)
	v_fmamk_f32 v35, v38, 0x3f737871, v11
	v_dual_add_f32 v2, v2, v106 :: v_dual_add_f32 v3, v3, v105
	v_fmac_f32_e32 v10, 0x3f737871, v36
	s_delay_alu instid0(VALU_DEP_4) | instskip(NEXT) | instid1(VALU_DEP_3)
	v_fmac_f32_e32 v34, 0xbf167918, v37
	v_dual_fmac_f32 v35, 0x3f167918, v39 :: v_dual_add_f32 v2, v2, v104
	s_delay_alu instid0(VALU_DEP_4) | instskip(SKIP_1) | instid1(VALU_DEP_4)
	v_add_f32_e32 v3, v3, v103
	v_fmac_f32_e32 v11, 0xbf737871, v38
	v_fmac_f32_e32 v34, 0x3e9e377a, v23
	;; [unrolled: 1-line block ×3, first 2 shown]
	s_delay_alu instid0(VALU_DEP_4) | instskip(SKIP_2) | instid1(VALU_DEP_4)
	v_dual_add_f32 v32, v2, v102 :: v_dual_add_f32 v33, v3, v101
	v_dual_sub_f32 v2, v107, v105 :: v_dual_sub_f32 v3, v101, v103
	v_fmac_f32_e32 v11, 0xbf167918, v39
	v_dual_fmac_f32 v10, 0x3e9e377a, v23 :: v_dual_add_f32 v23, v8, v100
	s_delay_alu instid0(VALU_DEP_3)
	v_add_f32_e32 v109, v2, v3
	ds_load_2addr_b64 v[2:5], v223 offset0:122 offset1:247
	s_waitcnt lgkmcnt(0)
	s_barrier
	buffer_gl0_inv
	scratch_load_b32 v40, off, off offset:220 ; 4-byte Folded Reload
	v_fmac_f32_e32 v35, 0x3e9e377a, v109
	v_fmac_f32_e32 v11, 0x3e9e377a, v109
	s_waitcnt vmcnt(0)
	ds_store_2addr_b64 v40, v[32:33], v[34:35] offset1:25
	v_dual_sub_f32 v32, v106, v108 :: v_dual_sub_f32 v33, v104, v102
	v_dual_add_f32 v34, v108, v102 :: v_dual_sub_f32 v35, v103, v101
	ds_store_b64 v40, v[10:11] offset:800
	v_sub_f32_e32 v10, v96, v98
	v_add_f32_e32 v33, v32, v33
	v_add_f32_e32 v32, v107, v101
	v_fma_f32 v6, -0.5, v34, v6
	v_sub_f32_e32 v34, v105, v107
	s_delay_alu instid0(VALU_DEP_3) | instskip(NEXT) | instid1(VALU_DEP_3)
	v_fma_f32 v7, -0.5, v32, v7
	v_fmamk_f32 v32, v37, 0x3f737871, v6
	v_fmac_f32_e32 v6, 0xbf737871, v37
	s_delay_alu instid0(VALU_DEP_4) | instskip(SKIP_1) | instid1(VALU_DEP_4)
	v_add_f32_e32 v34, v34, v35
	v_sub_f32_e32 v35, v97, v99
	v_dual_sub_f32 v37, v100, v98 :: v_dual_fmac_f32 v32, 0xbf167918, v36
	s_delay_alu instid0(VALU_DEP_4) | instskip(SKIP_1) | instid1(VALU_DEP_3)
	v_fmac_f32_e32 v6, 0x3f167918, v36
	v_sub_f32_e32 v36, v21, v96
	v_fmac_f32_e32 v32, 0x3e9e377a, v33
	s_delay_alu instid0(VALU_DEP_3) | instskip(SKIP_2) | instid1(VALU_DEP_2)
	v_fmac_f32_e32 v6, 0x3e9e377a, v33
	v_fmamk_f32 v33, v39, 0xbf737871, v7
	v_fmac_f32_e32 v7, 0x3f737871, v39
	v_fmac_f32_e32 v33, 0x3f167918, v38
	s_delay_alu instid0(VALU_DEP_2) | instskip(NEXT) | instid1(VALU_DEP_2)
	v_fmac_f32_e32 v7, 0xbf167918, v38
	v_fmac_f32_e32 v33, 0x3e9e377a, v34
	s_delay_alu instid0(VALU_DEP_2) | instskip(SKIP_3) | instid1(VALU_DEP_2)
	v_dual_fmac_f32 v7, 0x3e9e377a, v34 :: v_dual_add_f32 v34, v9, v20
	ds_store_2addr_b64 v40, v[32:33], v[6:7] offset0:50 offset1:75
	v_dual_add_f32 v6, v21, v96 :: v_dual_add_f32 v7, v100, v98
	v_dual_sub_f32 v32, v22, v97 :: v_dual_sub_f32 v33, v20, v99
	v_fma_f32 v6, -0.5, v6, v8
	s_delay_alu instid0(VALU_DEP_3) | instskip(SKIP_1) | instid1(VALU_DEP_1)
	v_fma_f32 v8, -0.5, v7, v8
	v_sub_f32_e32 v7, v21, v100
	v_dual_add_f32 v11, v7, v10 :: v_dual_fmamk_f32 v10, v32, 0x3f737871, v8
	v_dual_fmac_f32 v8, 0xbf737871, v32 :: v_dual_add_f32 v7, v22, v97
	s_delay_alu instid0(VALU_DEP_2) | instskip(NEXT) | instid1(VALU_DEP_2)
	v_fmac_f32_e32 v10, 0xbf167918, v33
	v_fmac_f32_e32 v8, 0x3f167918, v33
	s_delay_alu instid0(VALU_DEP_3) | instskip(NEXT) | instid1(VALU_DEP_3)
	v_fma_f32 v7, -0.5, v7, v9
	v_fmac_f32_e32 v10, 0x3e9e377a, v11
	s_delay_alu instid0(VALU_DEP_3) | instskip(SKIP_1) | instid1(VALU_DEP_1)
	v_fmac_f32_e32 v8, 0x3e9e377a, v11
	v_add_f32_e32 v11, v20, v99
	v_fmac_f32_e32 v9, -0.5, v11
	v_sub_f32_e32 v11, v22, v20
	s_delay_alu instid0(VALU_DEP_1) | instskip(NEXT) | instid1(VALU_DEP_3)
	v_add_f32_e32 v35, v11, v35
	v_fmamk_f32 v11, v36, 0xbf737871, v9
	v_fmac_f32_e32 v9, 0x3f737871, v36
	s_delay_alu instid0(VALU_DEP_2) | instskip(NEXT) | instid1(VALU_DEP_2)
	v_fmac_f32_e32 v11, 0x3f167918, v37
	v_fmac_f32_e32 v9, 0xbf167918, v37
	s_delay_alu instid0(VALU_DEP_2) | instskip(NEXT) | instid1(VALU_DEP_2)
	v_fmac_f32_e32 v11, 0x3e9e377a, v35
	v_fmac_f32_e32 v9, 0x3e9e377a, v35
	scratch_load_b32 v35, off, off offset:224 ; 4-byte Folded Reload
	s_waitcnt vmcnt(0)
	ds_store_2addr_b64 v35, v[10:11], v[8:9] offset0:50 offset1:75
	v_add_f32_e32 v9, v34, v22
	scratch_load_b32 v34, off, off offset:228 ; 4-byte Folded Reload
	v_add_f32_e32 v8, v23, v21
	v_sub_f32_e32 v10, v100, v21
	v_dual_sub_f32 v11, v20, v22 :: v_dual_sub_f32 v20, v98, v96
	s_delay_alu instid0(VALU_DEP_3) | instskip(SKIP_1) | instid1(VALU_DEP_2)
	v_dual_sub_f32 v21, v99, v97 :: v_dual_add_f32 v8, v8, v96
	v_dual_add_f32 v9, v9, v97 :: v_dual_sub_f32 v22, v30, v92
	v_dual_add_f32 v20, v10, v20 :: v_dual_add_f32 v21, v11, v21
	v_fmamk_f32 v10, v33, 0xbf737871, v6
	v_dual_fmamk_f32 v11, v37, 0x3f737871, v7 :: v_dual_fmac_f32 v6, 0x3f737871, v33
	v_dual_fmac_f32 v7, 0xbf737871, v37 :: v_dual_add_f32 v8, v8, v98
	s_delay_alu instid0(VALU_DEP_3) | instskip(NEXT) | instid1(VALU_DEP_3)
	v_fmac_f32_e32 v10, 0xbf167918, v32
	v_fmac_f32_e32 v11, 0x3f167918, v36
	s_delay_alu instid0(VALU_DEP_4) | instskip(NEXT) | instid1(VALU_DEP_4)
	v_fmac_f32_e32 v6, 0x3f167918, v32
	v_fmac_f32_e32 v7, 0xbf167918, v36
	s_delay_alu instid0(VALU_DEP_4) | instskip(NEXT) | instid1(VALU_DEP_3)
	v_dual_add_f32 v9, v9, v99 :: v_dual_fmac_f32 v10, 0x3e9e377a, v20
	v_dual_fmac_f32 v11, 0x3e9e377a, v21 :: v_dual_fmac_f32 v6, 0x3e9e377a, v20
	s_delay_alu instid0(VALU_DEP_3)
	v_fmac_f32_e32 v7, 0x3e9e377a, v21
	v_dual_sub_f32 v32, v31, v93 :: v_dual_sub_f32 v23, v28, v94
	ds_store_2addr_b64 v35, v[8:9], v[10:11] offset1:25
	v_add_f32_e32 v8, v2, v31
	ds_store_b64 v35, v[6:7] offset:800
	v_dual_sub_f32 v6, v31, v29 :: v_dual_sub_f32 v7, v93, v95
	v_dual_add_f32 v9, v3, v30 :: v_dual_sub_f32 v10, v30, v28
	v_sub_f32_e32 v11, v92, v94
	v_add_f32_e32 v8, v8, v29
	s_delay_alu instid0(VALU_DEP_4) | instskip(SKIP_4) | instid1(VALU_DEP_4)
	v_add_f32_e32 v20, v6, v7
	v_dual_add_f32 v6, v29, v95 :: v_dual_add_f32 v7, v28, v94
	v_add_f32_e32 v9, v9, v28
	v_add_f32_e32 v21, v10, v11
	v_sub_f32_e32 v33, v29, v95
	v_fma_f32 v6, -0.5, v6, v2
	v_fma_f32 v7, -0.5, v7, v3
	v_dual_add_f32 v8, v8, v95 :: v_dual_add_f32 v9, v9, v94
	s_delay_alu instid0(VALU_DEP_3) | instskip(NEXT) | instid1(VALU_DEP_3)
	v_fmamk_f32 v10, v22, 0xbf737871, v6
	v_fmamk_f32 v11, v32, 0x3f737871, v7
	s_delay_alu instid0(VALU_DEP_3) | instskip(SKIP_1) | instid1(VALU_DEP_4)
	v_dual_add_f32 v8, v8, v93 :: v_dual_add_f32 v9, v9, v92
	v_fmac_f32_e32 v6, 0x3f737871, v22
	v_fmac_f32_e32 v10, 0xbf167918, v23
	s_delay_alu instid0(VALU_DEP_4) | instskip(SKIP_1) | instid1(VALU_DEP_4)
	v_fmac_f32_e32 v11, 0x3f167918, v33
	v_fmac_f32_e32 v7, 0xbf737871, v32
	;; [unrolled: 1-line block ×3, first 2 shown]
	s_delay_alu instid0(VALU_DEP_3) | instskip(NEXT) | instid1(VALU_DEP_3)
	v_dual_fmac_f32 v10, 0x3e9e377a, v20 :: v_dual_fmac_f32 v11, 0x3e9e377a, v21
	v_fmac_f32_e32 v7, 0xbf167918, v33
	s_delay_alu instid0(VALU_DEP_3) | instskip(NEXT) | instid1(VALU_DEP_2)
	v_fmac_f32_e32 v6, 0x3e9e377a, v20
	v_dual_sub_f32 v20, v89, v91 :: v_dual_fmac_f32 v7, 0x3e9e377a, v21
	s_waitcnt vmcnt(0)
	ds_store_2addr_b64 v34, v[8:9], v[10:11] offset1:25
	v_dual_sub_f32 v8, v29, v31 :: v_dual_sub_f32 v9, v95, v93
	v_dual_add_f32 v10, v31, v93 :: v_dual_sub_f32 v11, v94, v92
	ds_store_b64 v34, v[6:7] offset:800
	v_dual_add_f32 v9, v8, v9 :: v_dual_add_f32 v8, v30, v92
	v_fma_f32 v2, -0.5, v10, v2
	v_sub_f32_e32 v10, v28, v30
	s_delay_alu instid0(VALU_DEP_3) | instskip(NEXT) | instid1(VALU_DEP_3)
	v_fma_f32 v3, -0.5, v8, v3
	v_fmamk_f32 v8, v23, 0x3f737871, v2
	v_fmac_f32_e32 v2, 0xbf737871, v23
	s_delay_alu instid0(VALU_DEP_4) | instskip(SKIP_1) | instid1(VALU_DEP_4)
	v_dual_add_f32 v10, v10, v11 :: v_dual_add_f32 v11, v5, v25
	v_sub_f32_e32 v6, v88, v90
	v_fmac_f32_e32 v8, 0xbf167918, v22
	s_delay_alu instid0(VALU_DEP_4) | instskip(NEXT) | instid1(VALU_DEP_2)
	v_dual_fmac_f32 v2, 0x3f167918, v22 :: v_dual_sub_f32 v21, v26, v88
	v_fmac_f32_e32 v8, 0x3e9e377a, v9
	s_delay_alu instid0(VALU_DEP_2) | instskip(SKIP_2) | instid1(VALU_DEP_2)
	v_fmac_f32_e32 v2, 0x3e9e377a, v9
	v_fmamk_f32 v9, v33, 0xbf737871, v3
	v_fmac_f32_e32 v3, 0x3f737871, v33
	v_fmac_f32_e32 v9, 0x3f167918, v32
	s_delay_alu instid0(VALU_DEP_2) | instskip(NEXT) | instid1(VALU_DEP_2)
	v_fmac_f32_e32 v3, 0xbf167918, v32
	v_fmac_f32_e32 v9, 0x3e9e377a, v10
	s_delay_alu instid0(VALU_DEP_2) | instskip(SKIP_3) | instid1(VALU_DEP_2)
	v_dual_fmac_f32 v3, 0x3e9e377a, v10 :: v_dual_sub_f32 v10, v25, v91
	ds_store_2addr_b64 v34, v[8:9], v[2:3] offset0:50 offset1:75
	v_dual_add_f32 v2, v26, v88 :: v_dual_add_f32 v3, v24, v90
	v_dual_add_f32 v8, v4, v24 :: v_dual_sub_f32 v9, v27, v89
	v_fma_f32 v2, -0.5, v2, v4
	s_delay_alu instid0(VALU_DEP_3) | instskip(SKIP_1) | instid1(VALU_DEP_1)
	v_fma_f32 v4, -0.5, v3, v4
	v_sub_f32_e32 v3, v26, v24
	v_dual_add_f32 v7, v3, v6 :: v_dual_fmamk_f32 v6, v9, 0x3f737871, v4
	v_fmac_f32_e32 v4, 0xbf737871, v9
	s_delay_alu instid0(VALU_DEP_2) | instskip(NEXT) | instid1(VALU_DEP_2)
	v_dual_add_f32 v3, v27, v89 :: v_dual_fmac_f32 v6, 0xbf167918, v10
	v_fmac_f32_e32 v4, 0x3f167918, v10
	s_delay_alu instid0(VALU_DEP_2) | instskip(NEXT) | instid1(VALU_DEP_3)
	v_fma_f32 v3, -0.5, v3, v5
	v_fmac_f32_e32 v6, 0x3e9e377a, v7
	s_delay_alu instid0(VALU_DEP_3) | instskip(SKIP_1) | instid1(VALU_DEP_1)
	v_fmac_f32_e32 v4, 0x3e9e377a, v7
	v_add_f32_e32 v7, v25, v91
	v_fmac_f32_e32 v5, -0.5, v7
	v_sub_f32_e32 v7, v27, v25
	s_delay_alu instid0(VALU_DEP_1) | instskip(SKIP_1) | instid1(VALU_DEP_1)
	v_dual_add_f32 v20, v7, v20 :: v_dual_fmamk_f32 v7, v21, 0xbf737871, v5
	v_dual_fmac_f32 v5, 0x3f737871, v21 :: v_dual_sub_f32 v22, v24, v90
	v_fmac_f32_e32 v7, 0x3f167918, v22
	s_delay_alu instid0(VALU_DEP_2) | instskip(NEXT) | instid1(VALU_DEP_2)
	v_fmac_f32_e32 v5, 0xbf167918, v22
	v_fmac_f32_e32 v7, 0x3e9e377a, v20
	s_delay_alu instid0(VALU_DEP_2)
	v_fmac_f32_e32 v5, 0x3e9e377a, v20
	scratch_load_b32 v20, off, off offset:236 ; 4-byte Folded Reload
	s_waitcnt vmcnt(0)
	ds_store_2addr_b64 v20, v[6:7], v[4:5] offset0:50 offset1:75
	v_add_f32_e32 v4, v8, v26
	v_dual_sub_f32 v6, v24, v26 :: v_dual_add_f32 v5, v11, v27
	v_dual_sub_f32 v7, v25, v27 :: v_dual_sub_f32 v8, v90, v88
	s_delay_alu instid0(VALU_DEP_3) | instskip(NEXT) | instid1(VALU_DEP_2)
	v_dual_sub_f32 v11, v91, v89 :: v_dual_add_f32 v4, v4, v88
	v_dual_add_f32 v5, v5, v89 :: v_dual_add_f32 v8, v6, v8
	s_delay_alu instid0(VALU_DEP_2) | instskip(SKIP_3) | instid1(VALU_DEP_4)
	v_dual_add_f32 v11, v7, v11 :: v_dual_fmamk_f32 v6, v10, 0xbf737871, v2
	v_dual_fmamk_f32 v7, v22, 0x3f737871, v3 :: v_dual_fmac_f32 v2, 0x3f737871, v10
	v_fmac_f32_e32 v3, 0xbf737871, v22
	v_add_f32_e32 v4, v4, v90
	v_fmac_f32_e32 v6, 0xbf167918, v9
	s_delay_alu instid0(VALU_DEP_4) | instskip(SKIP_2) | instid1(VALU_DEP_4)
	v_fmac_f32_e32 v7, 0x3f167918, v21
	v_fmac_f32_e32 v2, 0x3f167918, v9
	;; [unrolled: 1-line block ×3, first 2 shown]
	v_dual_add_f32 v5, v5, v91 :: v_dual_fmac_f32 v6, 0x3e9e377a, v8
	s_delay_alu instid0(VALU_DEP_3) | instskip(NEXT) | instid1(VALU_DEP_3)
	v_dual_fmac_f32 v7, 0x3e9e377a, v11 :: v_dual_fmac_f32 v2, 0x3e9e377a, v8
	v_dual_fmac_f32 v3, 0x3e9e377a, v11 :: v_dual_sub_f32 v8, v19, v13
	v_add_f32_e32 v9, v1, v19
	ds_store_2addr_b64 v20, v[4:5], v[6:7] offset1:25
	v_sub_f32_e32 v7, v17, v15
	ds_store_b64 v20, v[2:3] offset:800
	v_dual_add_f32 v2, v16, v14 :: v_dual_add_f32 v3, v18, v12
	v_dual_add_f32 v6, v0, v18 :: v_dual_sub_f32 v5, v14, v12
	v_sub_f32_e32 v10, v15, v13
	s_delay_alu instid0(VALU_DEP_3) | instskip(NEXT) | instid1(VALU_DEP_4)
	v_fma_f32 v2, -0.5, v2, v0
	v_fma_f32 v0, -0.5, v3, v0
	v_dual_add_f32 v3, v17, v15 :: v_dual_sub_f32 v4, v16, v18
	v_dual_sub_f32 v11, v16, v14 :: v_dual_sub_f32 v20, v18, v12
	s_delay_alu instid0(VALU_DEP_2) | instskip(NEXT) | instid1(VALU_DEP_3)
	v_fma_f32 v3, -0.5, v3, v1
	v_dual_add_f32 v5, v4, v5 :: v_dual_fmamk_f32 v4, v7, 0x3f737871, v0
	v_fmac_f32_e32 v0, 0xbf737871, v7
	s_delay_alu instid0(VALU_DEP_2) | instskip(NEXT) | instid1(VALU_DEP_2)
	v_fmac_f32_e32 v4, 0xbf167918, v8
	v_fmac_f32_e32 v0, 0x3f167918, v8
	s_delay_alu instid0(VALU_DEP_2) | instskip(NEXT) | instid1(VALU_DEP_2)
	v_fmac_f32_e32 v4, 0x3e9e377a, v5
	v_fmac_f32_e32 v0, 0x3e9e377a, v5
	v_add_f32_e32 v5, v19, v13
	s_delay_alu instid0(VALU_DEP_1) | instskip(SKIP_1) | instid1(VALU_DEP_1)
	v_fmac_f32_e32 v1, -0.5, v5
	v_sub_f32_e32 v5, v17, v19
	v_dual_add_f32 v10, v5, v10 :: v_dual_fmamk_f32 v5, v11, 0xbf737871, v1
	v_fmac_f32_e32 v1, 0x3f737871, v11
	s_delay_alu instid0(VALU_DEP_2) | instskip(NEXT) | instid1(VALU_DEP_2)
	v_fmac_f32_e32 v5, 0x3f167918, v20
	v_fmac_f32_e32 v1, 0xbf167918, v20
	s_delay_alu instid0(VALU_DEP_2) | instskip(NEXT) | instid1(VALU_DEP_2)
	v_fmac_f32_e32 v5, 0x3e9e377a, v10
	v_fmac_f32_e32 v1, 0x3e9e377a, v10
	scratch_load_b32 v10, off, off offset:232 ; 4-byte Folded Reload
	s_waitcnt vmcnt(0)
	ds_store_2addr_b64 v10, v[4:5], v[0:1] offset0:50 offset1:75
	v_add_f32_e32 v0, v6, v16
	v_dual_sub_f32 v4, v18, v16 :: v_dual_add_f32 v1, v9, v17
	v_dual_sub_f32 v5, v19, v17 :: v_dual_sub_f32 v6, v12, v14
	s_delay_alu instid0(VALU_DEP_3) | instskip(NEXT) | instid1(VALU_DEP_2)
	v_dual_sub_f32 v9, v13, v15 :: v_dual_add_f32 v0, v0, v14
	v_dual_add_f32 v1, v1, v15 :: v_dual_add_f32 v6, v4, v6
	s_delay_alu instid0(VALU_DEP_2) | instskip(SKIP_3) | instid1(VALU_DEP_4)
	v_dual_add_f32 v9, v5, v9 :: v_dual_fmamk_f32 v4, v8, 0xbf737871, v2
	v_dual_fmamk_f32 v5, v20, 0x3f737871, v3 :: v_dual_fmac_f32 v2, 0x3f737871, v8
	v_fmac_f32_e32 v3, 0xbf737871, v20
	v_add_f32_e32 v0, v0, v12
	v_fmac_f32_e32 v4, 0xbf167918, v7
	s_delay_alu instid0(VALU_DEP_4) | instskip(SKIP_2) | instid1(VALU_DEP_4)
	v_fmac_f32_e32 v5, 0x3f167918, v11
	v_fmac_f32_e32 v2, 0x3f167918, v7
	;; [unrolled: 1-line block ×3, first 2 shown]
	v_dual_add_f32 v1, v1, v13 :: v_dual_fmac_f32 v4, 0x3e9e377a, v6
	s_delay_alu instid0(VALU_DEP_3) | instskip(NEXT) | instid1(VALU_DEP_3)
	v_dual_fmac_f32 v5, 0x3e9e377a, v9 :: v_dual_fmac_f32 v2, 0x3e9e377a, v6
	v_fmac_f32_e32 v3, 0x3e9e377a, v9
	ds_store_2addr_b64 v10, v[0:1], v[4:5] offset1:25
	ds_store_b64 v10, v[2:3] offset:800
	s_waitcnt lgkmcnt(0)
	s_barrier
	buffer_gl0_inv
	ds_load_b64 v[0:1], v224 offset:24000
	ds_load_2addr_b64 v[6:9], v224 offset1:125
	s_waitcnt lgkmcnt(1)
	v_mul_f32_e32 v12, v75, v1
	s_delay_alu instid0(VALU_DEP_1) | instskip(SKIP_1) | instid1(VALU_DEP_1)
	v_fmac_f32_e32 v12, v74, v0
	v_mul_f32_e32 v0, v75, v0
	v_fma_f32 v13, v74, v1, -v0
	ds_load_2addr_b64 v[0:3], v255 offset0:74 offset1:199
	s_waitcnt lgkmcnt(0)
	v_mul_f32_e32 v14, v73, v3
	s_delay_alu instid0(VALU_DEP_1) | instskip(SKIP_1) | instid1(VALU_DEP_1)
	v_fmac_f32_e32 v14, v72, v2
	v_mul_f32_e32 v2, v73, v2
	v_fma_f32 v15, v72, v3, -v2
	v_mul_f32_e32 v16, v77, v1
	s_delay_alu instid0(VALU_DEP_1) | instskip(SKIP_1) | instid1(VALU_DEP_1)
	v_fmac_f32_e32 v16, v76, v0
	v_mul_f32_e32 v0, v77, v0
	v_fma_f32 v17, v76, v1, -v0
	ds_load_2addr_b64 v[0:3], v45 offset0:62 offset1:187
	s_waitcnt lgkmcnt(0)
	v_mul_f32_e32 v18, v79, v3
	v_mul_f32_e32 v24, v176, v1
	s_delay_alu instid0(VALU_DEP_2) | instskip(SKIP_1) | instid1(VALU_DEP_3)
	v_fmac_f32_e32 v18, v78, v2
	v_mul_f32_e32 v2, v79, v2
	v_fmac_f32_e32 v24, v175, v0
	v_mul_f32_e32 v0, v176, v0
	s_delay_alu instid0(VALU_DEP_3) | instskip(NEXT) | instid1(VALU_DEP_2)
	v_fma_f32 v19, v78, v3, -v2
	v_fma_f32 v25, v175, v1, -v0
	ds_load_2addr_b64 v[0:3], v164 offset0:80 offset1:205
	s_waitcnt lgkmcnt(0)
	v_mul_f32_e32 v26, v174, v3
	v_mul_f32_e32 v72, v66, v1
	s_delay_alu instid0(VALU_DEP_2) | instskip(SKIP_1) | instid1(VALU_DEP_3)
	v_fmac_f32_e32 v26, v173, v2
	v_mul_f32_e32 v2, v174, v2
	v_fmac_f32_e32 v72, v65, v0
	v_mul_f32_e32 v0, v66, v0
	s_delay_alu instid0(VALU_DEP_3) | instskip(NEXT) | instid1(VALU_DEP_2)
	v_fma_f32 v27, v173, v3, -v2
	v_fma_f32 v73, v65, v1, -v0
	ds_load_2addr_b64 v[0:3], v235 offset0:68 offset1:193
	s_waitcnt lgkmcnt(0)
	v_mul_f32_e32 v77, v68, v1
	s_delay_alu instid0(VALU_DEP_1) | instskip(SKIP_1) | instid1(VALU_DEP_2)
	v_dual_mul_f32 v74, v68, v3 :: v_dual_fmac_f32 v77, v67, v0
	v_mul_f32_e32 v0, v68, v0
	v_fmac_f32_e32 v74, v67, v2
	s_delay_alu instid0(VALU_DEP_2) | instskip(SKIP_1) | instid1(VALU_DEP_1)
	v_fma_f32 v76, v67, v1, -v0
	v_mul_f32_e32 v0, v68, v2
	v_fma_f32 v75, v67, v3, -v0
	ds_load_2addr_b64 v[0:3], v70 offset0:86 offset1:211
	s_waitcnt lgkmcnt(0)
	v_dual_mul_f32 v79, v66, v3 :: v_dual_mul_f32 v20, v212, v1
	s_delay_alu instid0(VALU_DEP_1) | instskip(SKIP_1) | instid1(VALU_DEP_3)
	v_fmac_f32_e32 v79, v65, v2
	v_mul_f32_e32 v2, v66, v2
	v_fmac_f32_e32 v20, v211, v0
	s_delay_alu instid0(VALU_DEP_3) | instskip(NEXT) | instid1(VALU_DEP_3)
	v_dual_mul_f32 v0, v212, v0 :: v_dual_sub_f32 v45, v79, v77
	v_fma_f32 v78, v65, v3, -v2
	s_delay_alu instid0(VALU_DEP_2) | instskip(SKIP_4) | instid1(VALU_DEP_2)
	v_fma_f32 v21, v211, v1, -v0
	ds_load_2addr_b64 v[0:3], v222 offset0:104 offset1:229
	s_waitcnt lgkmcnt(0)
	v_mul_f32_e32 v22, v210, v3
	v_mul_f32_e32 v28, v178, v1
	v_fmac_f32_e32 v22, v209, v2
	v_mul_f32_e32 v2, v210, v2
	s_delay_alu instid0(VALU_DEP_3) | instskip(SKIP_1) | instid1(VALU_DEP_3)
	v_fmac_f32_e32 v28, v177, v0
	v_mul_f32_e32 v0, v178, v0
	v_fma_f32 v23, v209, v3, -v2
	s_delay_alu instid0(VALU_DEP_3) | instskip(NEXT) | instid1(VALU_DEP_3)
	v_sub_f32_e32 v47, v28, v18
	v_fma_f32 v29, v177, v1, -v0
	ds_load_2addr_b64 v[0:3], v168 offset0:92 offset1:217
	s_waitcnt lgkmcnt(0)
	v_mul_f32_e32 v30, v180, v3
	v_mul_f32_e32 v36, v188, v1
	s_delay_alu instid0(VALU_DEP_2) | instskip(SKIP_1) | instid1(VALU_DEP_3)
	v_fmac_f32_e32 v30, v179, v2
	v_mul_f32_e32 v2, v180, v2
	v_fmac_f32_e32 v36, v187, v0
	v_mul_f32_e32 v0, v188, v0
	s_delay_alu instid0(VALU_DEP_4) | instskip(NEXT) | instid1(VALU_DEP_4)
	v_sub_f32_e32 v46, v30, v16
	v_fma_f32 v31, v179, v3, -v2
	s_delay_alu instid0(VALU_DEP_3)
	v_fma_f32 v37, v187, v1, -v0
	ds_load_2addr_b64 v[0:3], v246 offset0:110 offset1:235
	v_sub_f32_e32 v51, v37, v27
	s_waitcnt lgkmcnt(0)
	v_mul_f32_e32 v38, v186, v3
	v_mul_f32_e32 v52, v81, v1
	s_delay_alu instid0(VALU_DEP_2) | instskip(SKIP_1) | instid1(VALU_DEP_3)
	v_fmac_f32_e32 v38, v185, v2
	v_mul_f32_e32 v2, v186, v2
	v_fmac_f32_e32 v52, v80, v0
	v_mul_f32_e32 v0, v81, v0
	s_delay_alu instid0(VALU_DEP_3) | instskip(NEXT) | instid1(VALU_DEP_2)
	v_fma_f32 v39, v185, v3, -v2
	v_fma_f32 v53, v80, v1, -v0
	ds_load_2addr_b64 v[0:3], v172 offset0:98 offset1:223
	v_sub_f32_e32 v50, v39, v25
	s_waitcnt lgkmcnt(0)
	v_mul_f32_e32 v64, v83, v1
	v_mul_f32_e32 v54, v83, v3
	s_delay_alu instid0(VALU_DEP_2) | instskip(SKIP_1) | instid1(VALU_DEP_2)
	v_fmac_f32_e32 v64, v82, v0
	v_mul_f32_e32 v0, v83, v0
	v_dual_fmac_f32 v54, v82, v2 :: v_dual_sub_f32 v43, v64, v79
	s_delay_alu instid0(VALU_DEP_2) | instskip(SKIP_1) | instid1(VALU_DEP_2)
	v_fma_f32 v55, v82, v1, -v0
	v_mul_f32_e32 v0, v83, v2
	v_sub_f32_e32 v41, v55, v78
	s_delay_alu instid0(VALU_DEP_2) | instskip(SKIP_3) | instid1(VALU_DEP_1)
	v_fma_f32 v34, v82, v3, -v0
	ds_load_2addr_b64 v[0:3], v249 offset0:116 offset1:241
	s_waitcnt lgkmcnt(0)
	v_mul_f32_e32 v35, v81, v3
	v_fmac_f32_e32 v35, v80, v2
	v_mul_f32_e32 v2, v81, v2
	s_delay_alu instid0(VALU_DEP_2) | instskip(NEXT) | instid1(VALU_DEP_2)
	v_sub_f32_e32 v42, v35, v77
	v_fma_f32 v33, v80, v3, -v2
	v_dual_sub_f32 v2, v35, v64 :: v_dual_sub_f32 v3, v77, v79
	v_sub_f32_e32 v44, v64, v35
	s_delay_alu instid0(VALU_DEP_3) | instskip(NEXT) | instid1(VALU_DEP_3)
	v_sub_f32_e32 v40, v33, v76
	v_add_f32_e32 v32, v2, v3
	v_dual_add_f32 v2, v64, v79 :: v_dual_add_f32 v3, v55, v78
	s_delay_alu instid0(VALU_DEP_4) | instskip(NEXT) | instid1(VALU_DEP_2)
	v_dual_add_f32 v44, v44, v45 :: v_dual_add_f32 v45, v33, v76
	v_fma_f32 v10, -0.5, v2, v6
	s_delay_alu instid0(VALU_DEP_3) | instskip(SKIP_1) | instid1(VALU_DEP_3)
	v_fma_f32 v11, -0.5, v3, v7
	v_dual_add_f32 v2, v6, v35 :: v_dual_add_f32 v3, v7, v33
	v_dual_add_f32 v35, v35, v77 :: v_dual_fmamk_f32 v68, v40, 0xbf737871, v10
	s_delay_alu instid0(VALU_DEP_3) | instskip(NEXT) | instid1(VALU_DEP_3)
	v_fmamk_f32 v69, v42, 0x3f737871, v11
	v_dual_add_f32 v2, v2, v64 :: v_dual_add_f32 v3, v3, v55
	s_delay_alu instid0(VALU_DEP_3) | instskip(NEXT) | instid1(VALU_DEP_4)
	v_fma_f32 v6, -0.5, v35, v6
	v_fmac_f32_e32 v68, 0xbf167918, v41
	s_delay_alu instid0(VALU_DEP_4) | instskip(NEXT) | instid1(VALU_DEP_4)
	v_fmac_f32_e32 v69, 0x3f167918, v43
	v_dual_add_f32 v2, v2, v79 :: v_dual_add_f32 v3, v3, v78
	v_fma_f32 v7, -0.5, v45, v7
	s_delay_alu instid0(VALU_DEP_4) | instskip(SKIP_1) | instid1(VALU_DEP_4)
	v_fmac_f32_e32 v68, 0x3e9e377a, v32
	v_sub_f32_e32 v35, v78, v76
	v_dual_add_f32 v66, v2, v77 :: v_dual_add_f32 v67, v3, v76
	v_dual_sub_f32 v2, v33, v55 :: v_dual_sub_f32 v3, v76, v78
	v_dual_sub_f32 v33, v55, v33 :: v_dual_fmac_f32 v10, 0x3f737871, v40
	v_fmac_f32_e32 v11, 0xbf737871, v42
	s_delay_alu instid0(VALU_DEP_3)
	v_add_f32_e32 v65, v2, v3
	ds_load_2addr_b64 v[2:5], v223 offset0:122 offset1:247
	s_waitcnt lgkmcnt(0)
	s_barrier
	buffer_gl0_inv
	v_fmac_f32_e32 v69, 0x3e9e377a, v65
	v_dual_add_f32 v33, v33, v35 :: v_dual_fmac_f32 v10, 0x3f167918, v41
	v_fmac_f32_e32 v11, 0xbf167918, v43
	ds_store_2addr_b64 v224, v[66:67], v[68:69] offset1:125
	v_fmamk_f32 v66, v41, 0x3f737871, v6
	v_dual_fmac_f32 v6, 0xbf737871, v41 :: v_dual_fmamk_f32 v67, v43, 0xbf737871, v7
	v_fmac_f32_e32 v7, 0x3f737871, v43
	v_fmac_f32_e32 v10, 0x3e9e377a, v32
	s_delay_alu instid0(VALU_DEP_4) | instskip(NEXT) | instid1(VALU_DEP_4)
	v_fmac_f32_e32 v66, 0xbf167918, v40
	v_dual_fmac_f32 v6, 0x3f167918, v40 :: v_dual_fmac_f32 v67, 0x3f167918, v42
	s_delay_alu instid0(VALU_DEP_4) | instskip(NEXT) | instid1(VALU_DEP_3)
	v_fmac_f32_e32 v7, 0xbf167918, v42
	v_dual_fmac_f32 v11, 0x3e9e377a, v65 :: v_dual_fmac_f32 v66, 0x3e9e377a, v44
	s_delay_alu instid0(VALU_DEP_3) | instskip(NEXT) | instid1(VALU_DEP_3)
	v_dual_fmac_f32 v6, 0x3e9e377a, v44 :: v_dual_fmac_f32 v67, 0x3e9e377a, v33
	v_dual_fmac_f32 v7, 0x3e9e377a, v33 :: v_dual_add_f32 v32, v53, v75
	v_sub_f32_e32 v41, v34, v73
	v_dual_sub_f32 v33, v75, v73 :: v_dual_sub_f32 v42, v73, v75
	ds_store_2addr_b64 v223, v[66:67], v[6:7] offset0:122 offset1:247
	v_dual_add_f32 v6, v8, v52 :: v_dual_add_f32 v7, v9, v53
	v_dual_sub_f32 v43, v52, v74 :: v_dual_sub_f32 v44, v54, v72
	s_delay_alu instid0(VALU_DEP_2) | instskip(NEXT) | instid1(VALU_DEP_1)
	v_add_f32_e32 v6, v6, v54
	v_dual_add_f32 v7, v7, v34 :: v_dual_add_f32 v6, v6, v72
	s_delay_alu instid0(VALU_DEP_1) | instskip(NEXT) | instid1(VALU_DEP_1)
	v_dual_add_f32 v7, v7, v73 :: v_dual_add_f32 v6, v6, v74
	v_add_f32_e32 v7, v7, v75
	ds_store_2addr_b64 v249, v[10:11], v[6:7] offset0:116 offset1:241
	v_dual_sub_f32 v6, v52, v54 :: v_dual_sub_f32 v7, v74, v72
	v_dual_sub_f32 v10, v72, v74 :: v_dual_sub_f32 v11, v34, v53
	s_delay_alu instid0(VALU_DEP_2) | instskip(SKIP_1) | instid1(VALU_DEP_3)
	v_add_f32_e32 v35, v6, v7
	v_dual_add_f32 v6, v54, v72 :: v_dual_add_f32 v7, v52, v74
	v_add_f32_e32 v42, v11, v42
	s_delay_alu instid0(VALU_DEP_2) | instskip(NEXT) | instid1(VALU_DEP_3)
	v_fma_f32 v6, -0.5, v6, v8
	v_fma_f32 v8, -0.5, v7, v8
	v_sub_f32_e32 v7, v54, v52
	scratch_load_b32 v54, off, off offset:248 ; 4-byte Folded Reload
	v_sub_f32_e32 v52, v38, v24
	v_dual_add_f32 v40, v7, v10 :: v_dual_add_f32 v7, v34, v73
	v_sub_f32_e32 v10, v53, v34
	v_dual_sub_f32 v34, v53, v75 :: v_dual_sub_f32 v53, v36, v26
	s_delay_alu instid0(VALU_DEP_3) | instskip(SKIP_1) | instid1(VALU_DEP_4)
	v_fma_f32 v7, -0.5, v7, v9
	v_fmac_f32_e32 v9, -0.5, v32
	v_add_f32_e32 v45, v10, v33
	s_delay_alu instid0(VALU_DEP_4)
	v_fmamk_f32 v10, v34, 0xbf737871, v6
	v_fmac_f32_e32 v6, 0x3f737871, v34
	v_fmamk_f32 v32, v41, 0x3f737871, v8
	v_fmac_f32_e32 v8, 0xbf737871, v41
	;; [unrolled: 2-line block ×4, first 2 shown]
	v_fmac_f32_e32 v6, 0x3f167918, v41
	v_fmac_f32_e32 v8, 0x3f167918, v34
	v_dual_fmac_f32 v7, 0xbf167918, v44 :: v_dual_fmac_f32 v10, 0xbf167918, v41
	s_delay_alu instid0(VALU_DEP_4) | instskip(NEXT) | instid1(VALU_DEP_4)
	v_fmac_f32_e32 v9, 0xbf167918, v43
	v_fmac_f32_e32 v6, 0x3e9e377a, v35
	s_delay_alu instid0(VALU_DEP_3) | instskip(SKIP_1) | instid1(VALU_DEP_4)
	v_dual_fmac_f32 v8, 0x3e9e377a, v40 :: v_dual_fmac_f32 v7, 0x3e9e377a, v45
	v_fmac_f32_e32 v32, 0xbf167918, v34
	v_fmac_f32_e32 v9, 0x3e9e377a, v42
	;; [unrolled: 1-line block ×6, first 2 shown]
	ds_store_2addr_b64 v222, v[8:9], v[6:7] offset0:104 offset1:229
	v_fmac_f32_e32 v11, 0x3e9e377a, v45
	v_fmac_f32_e32 v33, 0x3e9e377a, v42
	v_dual_add_f32 v6, v20, v14 :: v_dual_add_f32 v7, v22, v12
	v_dual_sub_f32 v8, v20, v22 :: v_dual_sub_f32 v9, v14, v12
	ds_store_2addr_b64 v246, v[10:11], v[32:33] offset0:110 offset1:235
	v_add_f32_e32 v32, v0, v22
	v_fma_f32 v6, -0.5, v6, v0
	v_fma_f32 v0, -0.5, v7, v0
	v_sub_f32_e32 v33, v21, v15
	v_add_f32_e32 v9, v8, v9
	v_dual_sub_f32 v34, v23, v13 :: v_dual_add_f32 v7, v21, v15
	v_add_f32_e32 v35, v1, v23
	s_delay_alu instid0(VALU_DEP_4)
	v_fmamk_f32 v8, v33, 0x3f737871, v0
	v_fmac_f32_e32 v0, 0xbf737871, v33
	v_sub_f32_e32 v10, v15, v13
	v_fma_f32 v7, -0.5, v7, v1
	v_sub_f32_e32 v40, v20, v14
	v_fmac_f32_e32 v8, 0xbf167918, v34
	v_dual_fmac_f32 v0, 0x3f167918, v34 :: v_dual_sub_f32 v41, v22, v12
	v_dual_add_f32 v42, v4, v28 :: v_dual_sub_f32 v43, v31, v17
	s_delay_alu instid0(VALU_DEP_3) | instskip(NEXT) | instid1(VALU_DEP_3)
	v_fmac_f32_e32 v8, 0x3e9e377a, v9
	v_fmac_f32_e32 v0, 0x3e9e377a, v9
	v_dual_add_f32 v9, v23, v13 :: v_dual_sub_f32 v44, v29, v19
	v_add_f32_e32 v45, v5, v29
	v_sub_f32_e32 v11, v24, v26
	s_delay_alu instid0(VALU_DEP_3) | instskip(SKIP_1) | instid1(VALU_DEP_1)
	v_fmac_f32_e32 v1, -0.5, v9
	v_sub_f32_e32 v9, v21, v23
	v_dual_add_f32 v10, v9, v10 :: v_dual_fmamk_f32 v9, v40, 0xbf737871, v1
	v_fmac_f32_e32 v1, 0x3f737871, v40
	s_delay_alu instid0(VALU_DEP_2) | instskip(NEXT) | instid1(VALU_DEP_2)
	v_fmac_f32_e32 v9, 0x3f167918, v41
	v_fmac_f32_e32 v1, 0xbf167918, v41
	s_delay_alu instid0(VALU_DEP_2) | instskip(NEXT) | instid1(VALU_DEP_2)
	v_fmac_f32_e32 v9, 0x3e9e377a, v10
	v_fmac_f32_e32 v1, 0x3e9e377a, v10
	scratch_load_b32 v10, off, off offset:240 ; 4-byte Folded Reload
	s_waitcnt vmcnt(0)
	ds_store_2addr_b64 v10, v[8:9], v[0:1] offset0:62 offset1:187
	v_dual_add_f32 v0, v30, v16 :: v_dual_add_f32 v1, v28, v18
	v_sub_f32_e32 v8, v16, v18
	v_sub_f32_e32 v10, v17, v19
	s_delay_alu instid0(VALU_DEP_3) | instskip(NEXT) | instid1(VALU_DEP_4)
	v_fma_f32 v0, -0.5, v0, v4
	v_fma_f32 v4, -0.5, v1, v4
	v_sub_f32_e32 v1, v30, v28
	s_delay_alu instid0(VALU_DEP_1) | instskip(SKIP_1) | instid1(VALU_DEP_2)
	v_dual_add_f32 v9, v1, v8 :: v_dual_fmamk_f32 v8, v43, 0x3f737871, v4
	v_dual_fmac_f32 v4, 0xbf737871, v43 :: v_dual_add_f32 v1, v31, v17
	v_fmac_f32_e32 v8, 0xbf167918, v44
	s_delay_alu instid0(VALU_DEP_2) | instskip(NEXT) | instid1(VALU_DEP_3)
	v_fmac_f32_e32 v4, 0x3f167918, v44
	v_fma_f32 v1, -0.5, v1, v5
	s_delay_alu instid0(VALU_DEP_3) | instskip(NEXT) | instid1(VALU_DEP_3)
	v_fmac_f32_e32 v8, 0x3e9e377a, v9
	v_dual_fmac_f32 v4, 0x3e9e377a, v9 :: v_dual_add_f32 v9, v29, v19
	s_delay_alu instid0(VALU_DEP_1) | instskip(SKIP_1) | instid1(VALU_DEP_1)
	v_fmac_f32_e32 v5, -0.5, v9
	v_sub_f32_e32 v9, v31, v29
	v_dual_add_f32 v10, v9, v10 :: v_dual_fmamk_f32 v9, v46, 0xbf737871, v5
	v_fmac_f32_e32 v5, 0x3f737871, v46
	s_delay_alu instid0(VALU_DEP_2) | instskip(NEXT) | instid1(VALU_DEP_2)
	v_fmac_f32_e32 v9, 0x3f167918, v47
	v_fmac_f32_e32 v5, 0xbf167918, v47
	s_delay_alu instid0(VALU_DEP_2) | instskip(NEXT) | instid1(VALU_DEP_2)
	v_fmac_f32_e32 v9, 0x3e9e377a, v10
	v_fmac_f32_e32 v5, 0x3e9e377a, v10
	scratch_load_b32 v10, off, off offset:244 ; 4-byte Folded Reload
	s_waitcnt vmcnt(0)
	ds_store_2addr_b64 v10, v[8:9], v[4:5] offset0:77 offset1:202
	v_dual_add_f32 v5, v37, v27 :: v_dual_sub_f32 v10, v38, v36
	v_dual_add_f32 v8, v38, v24 :: v_dual_add_f32 v9, v39, v25
	s_delay_alu instid0(VALU_DEP_2) | instskip(NEXT) | instid1(VALU_DEP_3)
	v_fma_f32 v5, -0.5, v5, v3
	v_add_f32_e32 v48, v10, v11
	v_dual_sub_f32 v10, v39, v37 :: v_dual_sub_f32 v11, v25, v27
	s_delay_alu instid0(VALU_DEP_4) | instskip(SKIP_2) | instid1(VALU_DEP_4)
	v_fma_f32 v8, -0.5, v8, v2
	v_fma_f32 v9, -0.5, v9, v3
	v_add_f32_e32 v3, v3, v39
	v_add_f32_e32 v49, v10, v11
	v_fmamk_f32 v11, v52, 0x3f737871, v5
	v_fmac_f32_e32 v5, 0xbf737871, v52
	s_delay_alu instid0(VALU_DEP_4) | instskip(NEXT) | instid1(VALU_DEP_3)
	v_add_f32_e32 v3, v3, v37
	v_fmac_f32_e32 v11, 0x3f167918, v53
	s_delay_alu instid0(VALU_DEP_3) | instskip(NEXT) | instid1(VALU_DEP_3)
	v_fmac_f32_e32 v5, 0xbf167918, v53
	v_add_f32_e32 v3, v3, v27
	s_delay_alu instid0(VALU_DEP_3) | instskip(NEXT) | instid1(VALU_DEP_3)
	v_fmac_f32_e32 v11, 0x3e9e377a, v49
	v_dual_fmac_f32 v5, 0x3e9e377a, v49 :: v_dual_add_f32 v4, v36, v26
	s_delay_alu instid0(VALU_DEP_3) | instskip(NEXT) | instid1(VALU_DEP_2)
	v_add_f32_e32 v3, v3, v25
	v_fma_f32 v4, -0.5, v4, v2
	v_add_f32_e32 v2, v2, v38
	s_delay_alu instid0(VALU_DEP_2) | instskip(NEXT) | instid1(VALU_DEP_2)
	v_fmamk_f32 v10, v50, 0xbf737871, v4
	v_add_f32_e32 v2, v2, v36
	v_fmac_f32_e32 v4, 0x3f737871, v50
	s_delay_alu instid0(VALU_DEP_3) | instskip(NEXT) | instid1(VALU_DEP_3)
	v_fmac_f32_e32 v10, 0xbf167918, v51
	v_add_f32_e32 v2, v2, v26
	s_delay_alu instid0(VALU_DEP_3) | instskip(NEXT) | instid1(VALU_DEP_3)
	v_fmac_f32_e32 v4, 0x3f167918, v51
	v_fmac_f32_e32 v10, 0x3e9e377a, v48
	s_delay_alu instid0(VALU_DEP_3) | instskip(NEXT) | instid1(VALU_DEP_3)
	v_add_f32_e32 v2, v2, v24
	v_fmac_f32_e32 v4, 0x3e9e377a, v48
	ds_store_2addr_b64 v54, v[2:3], v[10:11] offset0:98 offset1:223
	v_dual_sub_f32 v2, v36, v38 :: v_dual_sub_f32 v3, v26, v24
	v_dual_sub_f32 v10, v37, v39 :: v_dual_sub_f32 v11, v27, v25
	s_delay_alu instid0(VALU_DEP_2) | instskip(SKIP_1) | instid1(VALU_DEP_3)
	v_dual_add_f32 v3, v2, v3 :: v_dual_fmamk_f32 v2, v51, 0x3f737871, v8
	v_fmac_f32_e32 v8, 0xbf737871, v51
	v_dual_add_f32 v10, v10, v11 :: v_dual_sub_f32 v11, v19, v17
	s_delay_alu instid0(VALU_DEP_3) | instskip(NEXT) | instid1(VALU_DEP_3)
	v_fmac_f32_e32 v2, 0xbf167918, v50
	v_fmac_f32_e32 v8, 0x3f167918, v50
	s_delay_alu instid0(VALU_DEP_2) | instskip(NEXT) | instid1(VALU_DEP_2)
	v_fmac_f32_e32 v2, 0x3e9e377a, v3
	v_fmac_f32_e32 v8, 0x3e9e377a, v3
	v_fmamk_f32 v3, v53, 0xbf737871, v9
	v_fmac_f32_e32 v9, 0x3f737871, v53
	s_delay_alu instid0(VALU_DEP_2) | instskip(NEXT) | instid1(VALU_DEP_2)
	v_fmac_f32_e32 v3, 0x3f167918, v52
	v_fmac_f32_e32 v9, 0xbf167918, v52
	s_delay_alu instid0(VALU_DEP_2) | instskip(NEXT) | instid1(VALU_DEP_2)
	v_fmac_f32_e32 v3, 0x3e9e377a, v10
	v_fmac_f32_e32 v9, 0x3e9e377a, v10
	scratch_load_b32 v10, off, off offset:252 ; 4-byte Folded Reload
	s_waitcnt vmcnt(0)
	ds_store_2addr_b64 v10, v[2:3], v[8:9] offset0:92 offset1:217
	v_add_f32_e32 v2, v42, v30
	v_sub_f32_e32 v10, v18, v16
	v_dual_sub_f32 v8, v28, v30 :: v_dual_sub_f32 v9, v29, v31
	s_delay_alu instid0(VALU_DEP_3)
	v_dual_add_f32 v3, v45, v31 :: v_dual_add_f32 v2, v2, v16
	scratch_load_b32 v16, off, off offset:256 ; 4-byte Folded Reload
	v_dual_add_f32 v10, v8, v10 :: v_dual_add_f32 v11, v9, v11
	v_fmamk_f32 v8, v44, 0xbf737871, v0
	v_fmamk_f32 v9, v47, 0x3f737871, v1
	v_dual_add_f32 v3, v3, v17 :: v_dual_add_f32 v2, v2, v18
	v_fmac_f32_e32 v0, 0x3f737871, v44
	s_delay_alu instid0(VALU_DEP_4) | instskip(NEXT) | instid1(VALU_DEP_4)
	v_fmac_f32_e32 v8, 0xbf167918, v43
	v_fmac_f32_e32 v9, 0x3f167918, v46
	s_delay_alu instid0(VALU_DEP_4) | instskip(SKIP_2) | instid1(VALU_DEP_4)
	v_add_f32_e32 v3, v3, v19
	v_fmac_f32_e32 v1, 0xbf737871, v47
	v_fmac_f32_e32 v0, 0x3f167918, v43
	v_dual_fmac_f32 v8, 0x3e9e377a, v10 :: v_dual_fmac_f32 v9, 0x3e9e377a, v11
	s_delay_alu instid0(VALU_DEP_3) | instskip(NEXT) | instid1(VALU_DEP_1)
	v_fmac_f32_e32 v1, 0xbf167918, v46
	v_dual_fmac_f32 v0, 0x3e9e377a, v10 :: v_dual_fmac_f32 v1, 0x3e9e377a, v11
	s_waitcnt vmcnt(0)
	ds_store_2addr_b64 v16, v[2:3], v[8:9] offset0:83 offset1:208
	v_dual_add_f32 v2, v32, v20 :: v_dual_add_f32 v3, v35, v21
	v_dual_sub_f32 v8, v22, v20 :: v_dual_sub_f32 v9, v23, v21
	s_delay_alu instid0(VALU_DEP_2) | instskip(SKIP_1) | instid1(VALU_DEP_2)
	v_dual_add_f32 v2, v2, v14 :: v_dual_add_f32 v3, v3, v15
	v_sub_f32_e32 v14, v12, v14
	v_dual_add_f32 v2, v2, v12 :: v_dual_add_f32 v3, v3, v13
	s_delay_alu instid0(VALU_DEP_2)
	v_dual_sub_f32 v12, v13, v15 :: v_dual_add_f32 v13, v8, v14
	scratch_load_b32 v14, off, off offset:272 ; 4-byte Folded Reload
	v_fmamk_f32 v8, v34, 0xbf737871, v6
	v_fmac_f32_e32 v6, 0x3f737871, v34
	v_add_f32_e32 v12, v9, v12
	v_fmamk_f32 v9, v41, 0x3f737871, v7
	v_fmac_f32_e32 v7, 0xbf737871, v41
	v_fmac_f32_e32 v8, 0xbf167918, v33
	s_delay_alu instid0(VALU_DEP_3) | instskip(NEXT) | instid1(VALU_DEP_3)
	v_dual_fmac_f32 v6, 0x3f167918, v33 :: v_dual_fmac_f32 v9, 0x3f167918, v40
	v_fmac_f32_e32 v7, 0xbf167918, v40
	s_delay_alu instid0(VALU_DEP_3) | instskip(NEXT) | instid1(VALU_DEP_3)
	v_fmac_f32_e32 v8, 0x3e9e377a, v13
	v_dual_fmac_f32 v6, 0x3e9e377a, v13 :: v_dual_fmac_f32 v9, 0x3e9e377a, v12
	s_delay_alu instid0(VALU_DEP_3)
	v_fmac_f32_e32 v7, 0x3e9e377a, v12
	s_waitcnt vmcnt(0)
	ds_store_2addr_b64 v14, v[2:3], v[8:9] offset0:68 offset1:193
	scratch_load_b32 v2, off, off offset:268 ; 4-byte Folded Reload
	s_waitcnt vmcnt(0)
	ds_store_b64 v2, v[4:5] offset:14000
	scratch_load_b32 v2, off, off offset:264 ; 4-byte Folded Reload
	s_waitcnt vmcnt(0)
	ds_store_b64 v2, v[0:1] offset:19000
	;; [unrolled: 3-line block ×3, first 2 shown]
	s_waitcnt lgkmcnt(0)
	s_barrier
	buffer_gl0_inv
	ds_load_b64 v[0:1], v224 offset:24000
	s_waitcnt lgkmcnt(0)
	v_mul_f32_e32 v8, v151, v1
	s_delay_alu instid0(VALU_DEP_1) | instskip(SKIP_1) | instid1(VALU_DEP_1)
	v_fmac_f32_e32 v8, v150, v0
	v_mul_f32_e32 v0, v151, v0
	v_fma_f32 v9, v150, v1, -v0
	ds_load_2addr_b64 v[0:3], v255 offset0:74 offset1:199
	s_waitcnt lgkmcnt(0)
	v_mul_f32_e32 v10, v149, v3
	v_mul_f32_e32 v12, v141, v1
	s_delay_alu instid0(VALU_DEP_2) | instskip(SKIP_1) | instid1(VALU_DEP_3)
	v_fmac_f32_e32 v10, v148, v2
	v_mul_f32_e32 v2, v149, v2
	v_fmac_f32_e32 v12, v140, v0
	v_mul_f32_e32 v0, v141, v0
	s_delay_alu instid0(VALU_DEP_3) | instskip(NEXT) | instid1(VALU_DEP_2)
	v_fma_f32 v11, v148, v3, -v2
	v_fma_f32 v13, v140, v1, -v0
	ds_load_2addr_b64 v[0:3], v165 offset0:62 offset1:187
	s_waitcnt lgkmcnt(0)
	v_mul_f32_e32 v14, v143, v3
	v_mul_f32_e32 v16, v87, v1
	s_delay_alu instid0(VALU_DEP_2) | instskip(SKIP_1) | instid1(VALU_DEP_3)
	v_fmac_f32_e32 v14, v142, v2
	v_mul_f32_e32 v2, v143, v2
	v_fmac_f32_e32 v16, v86, v0
	v_mul_f32_e32 v0, v87, v0
	s_delay_alu instid0(VALU_DEP_3) | instskip(NEXT) | instid1(VALU_DEP_2)
	v_fma_f32 v15, v142, v3, -v2
	;; [unrolled: 12-line block ×4, first 2 shown]
	v_fma_f32 v51, v191, v1, -v0
	ds_load_2addr_b64 v[0:3], v70 offset0:86 offset1:211
	s_waitcnt lgkmcnt(0)
	v_mul_f32_e32 v50, v190, v3
	v_mul_f32_e32 v20, v147, v1
	s_delay_alu instid0(VALU_DEP_2) | instskip(SKIP_1) | instid1(VALU_DEP_3)
	v_fmac_f32_e32 v50, v189, v2
	v_mul_f32_e32 v2, v190, v2
	v_fmac_f32_e32 v20, v146, v0
	v_mul_f32_e32 v0, v147, v0
	s_delay_alu instid0(VALU_DEP_3) | instskip(NEXT) | instid1(VALU_DEP_3)
	v_fma_f32 v48, v189, v3, -v2
	v_sub_f32_e32 v64, v20, v10
	s_delay_alu instid0(VALU_DEP_3)
	v_fma_f32 v21, v146, v1, -v0
	ds_load_2addr_b64 v[0:3], v222 offset0:104 offset1:229
	v_sub_f32_e32 v46, v51, v48
	s_waitcnt lgkmcnt(0)
	v_mul_f32_e32 v28, v145, v3
	v_mul_f32_e32 v30, v137, v1
	s_delay_alu instid0(VALU_DEP_2) | instskip(SKIP_1) | instid1(VALU_DEP_3)
	v_fmac_f32_e32 v28, v144, v2
	v_mul_f32_e32 v2, v145, v2
	v_fmac_f32_e32 v30, v136, v0
	v_mul_f32_e32 v0, v137, v0
	s_delay_alu instid0(VALU_DEP_4) | instskip(NEXT) | instid1(VALU_DEP_4)
	v_sub_f32_e32 v65, v28, v8
	v_fma_f32 v29, v144, v3, -v2
	s_delay_alu instid0(VALU_DEP_3) | instskip(SKIP_4) | instid1(VALU_DEP_2)
	v_fma_f32 v31, v136, v1, -v0
	ds_load_2addr_b64 v[0:3], v168 offset0:92 offset1:217
	s_waitcnt lgkmcnt(0)
	v_mul_f32_e32 v22, v139, v3
	v_mul_f32_e32 v24, v63, v1
	v_fmac_f32_e32 v22, v138, v2
	v_mul_f32_e32 v2, v139, v2
	s_delay_alu instid0(VALU_DEP_3) | instskip(SKIP_1) | instid1(VALU_DEP_3)
	v_fmac_f32_e32 v24, v62, v0
	v_dual_mul_f32 v0, v63, v0 :: v_dual_sub_f32 v63, v29, v9
	v_fma_f32 v23, v138, v3, -v2
	s_delay_alu instid0(VALU_DEP_3) | instskip(NEXT) | instid1(VALU_DEP_3)
	v_sub_f32_e32 v58, v24, v18
	v_fma_f32 v25, v62, v1, -v0
	ds_load_2addr_b64 v[0:3], v246 offset0:110 offset1:235
	v_sub_f32_e32 v62, v21, v11
	v_sub_f32_e32 v56, v25, v19
	s_waitcnt lgkmcnt(0)
	v_mul_f32_e32 v26, v61, v3
	v_mul_f32_e32 v36, v194, v1
	s_delay_alu instid0(VALU_DEP_2) | instskip(SKIP_1) | instid1(VALU_DEP_3)
	v_fmac_f32_e32 v26, v60, v2
	v_mul_f32_e32 v2, v61, v2
	v_fmac_f32_e32 v36, v193, v0
	v_mul_f32_e32 v0, v194, v0
	v_sub_f32_e32 v61, v30, v14
	v_sub_f32_e32 v59, v26, v16
	v_fma_f32 v27, v60, v3, -v2
	v_sub_f32_e32 v55, v36, v34
	v_fma_f32 v37, v193, v1, -v0
	ds_load_2addr_b64 v[0:3], v172 offset0:98 offset1:223
	v_dual_sub_f32 v60, v22, v12 :: v_dual_sub_f32 v57, v27, v17
	s_waitcnt lgkmcnt(0)
	v_mul_f32_e32 v38, v196, v3
	v_mul_f32_e32 v44, v200, v1
	s_delay_alu instid0(VALU_DEP_2) | instskip(SKIP_1) | instid1(VALU_DEP_3)
	v_fmac_f32_e32 v38, v195, v2
	v_mul_f32_e32 v2, v196, v2
	v_fmac_f32_e32 v44, v199, v0
	v_mul_f32_e32 v0, v200, v0
	s_delay_alu instid0(VALU_DEP_3) | instskip(NEXT) | instid1(VALU_DEP_3)
	v_fma_f32 v39, v195, v3, -v2
	v_add_f32_e32 v6, v44, v50
	s_delay_alu instid0(VALU_DEP_3) | instskip(SKIP_4) | instid1(VALU_DEP_1)
	v_fma_f32 v43, v199, v1, -v0
	ds_load_2addr_b64 v[0:3], v249 offset0:116 offset1:241
	v_add_f32_e32 v7, v43, v48
	s_waitcnt lgkmcnt(0)
	v_dual_sub_f32 v49, v43, v48 :: v_dual_mul_f32 v42, v198, v3
	v_fmac_f32_e32 v42, v197, v2
	v_mul_f32_e32 v2, v198, v2
	s_delay_alu instid0(VALU_DEP_2) | instskip(NEXT) | instid1(VALU_DEP_2)
	v_add_f32_e32 v54, v42, v52
	v_fma_f32 v41, v197, v3, -v2
	v_dual_sub_f32 v2, v42, v44 :: v_dual_sub_f32 v3, v52, v50
	s_delay_alu instid0(VALU_DEP_2) | instskip(SKIP_1) | instid1(VALU_DEP_3)
	v_sub_f32_e32 v45, v41, v43
	v_sub_f32_e32 v53, v41, v51
	v_add_f32_e32 v40, v2, v3
	ds_load_2addr_b64 v[2:5], v224 offset1:125
	v_add_f32_e32 v45, v45, v46
	s_waitcnt lgkmcnt(0)
	v_dual_add_f32 v46, v2, v42 :: v_dual_add_f32 v47, v3, v41
	v_fma_f32 v6, -0.5, v6, v2
	v_fma_f32 v7, -0.5, v7, v3
	;; [unrolled: 1-line block ×3, first 2 shown]
	s_delay_alu instid0(VALU_DEP_4) | instskip(SKIP_2) | instid1(VALU_DEP_3)
	v_dual_add_f32 v46, v46, v44 :: v_dual_add_f32 v47, v47, v43
	v_sub_f32_e32 v43, v43, v41
	v_dual_add_f32 v41, v41, v51 :: v_dual_sub_f32 v54, v38, v32
	v_dual_add_f32 v46, v46, v50 :: v_dual_add_f32 v47, v47, v48
	v_sub_f32_e32 v48, v48, v51
	s_delay_alu instid0(VALU_DEP_3) | instskip(NEXT) | instid1(VALU_DEP_3)
	v_fma_f32 v3, -0.5, v41, v3
	v_dual_fmamk_f32 v41, v53, 0xbf737871, v6 :: v_dual_add_f32 v46, v46, v52
	s_delay_alu instid0(VALU_DEP_4)
	v_add_f32_e32 v47, v47, v51
	v_dual_sub_f32 v51, v42, v52 :: v_dual_sub_f32 v42, v44, v42
	v_sub_f32_e32 v52, v50, v52
	v_sub_f32_e32 v50, v44, v50
	v_dual_add_f32 v48, v43, v48 :: v_dual_fmamk_f32 v43, v49, 0x3f737871, v2
	v_fmac_f32_e32 v2, 0xbf737871, v49
	s_delay_alu instid0(VALU_DEP_4)
	v_add_f32_e32 v52, v42, v52
	v_fmamk_f32 v42, v51, 0x3f737871, v7
	v_fmamk_f32 v44, v50, 0xbf737871, v3
	v_dual_fmac_f32 v3, 0x3f737871, v50 :: v_dual_fmac_f32 v6, 0x3f737871, v53
	v_fmac_f32_e32 v7, 0xbf737871, v51
	v_fmac_f32_e32 v41, 0xbf167918, v49
	;; [unrolled: 1-line block ×9, first 2 shown]
	v_dual_fmac_f32 v41, 0x3e9e377a, v40 :: v_dual_fmac_f32 v42, 0x3e9e377a, v45
	v_fmac_f32_e32 v43, 0x3e9e377a, v52
	v_fmac_f32_e32 v44, 0x3e9e377a, v48
	;; [unrolled: 1-line block ×4, first 2 shown]
	v_dual_fmac_f32 v6, 0x3e9e377a, v40 :: v_dual_fmac_f32 v7, 0x3e9e377a, v45
	ds_store_b64 v224, v[41:42] offset:5000
	ds_store_b64 v224, v[43:44] offset:10000
	;; [unrolled: 1-line block ×4, first 2 shown]
	v_dual_add_f32 v2, v4, v36 :: v_dual_add_f32 v3, v5, v37
	ds_load_2addr_b64 v[40:43], v223 offset0:122 offset1:247
	v_dual_sub_f32 v6, v32, v34 :: v_dual_sub_f32 v7, v33, v35
	v_dual_add_f32 v2, v2, v38 :: v_dual_add_f32 v3, v3, v39
	v_dual_sub_f32 v44, v25, v27 :: v_dual_sub_f32 v45, v19, v17
	v_sub_f32_e32 v52, v39, v33
	s_delay_alu instid0(VALU_DEP_3) | instskip(SKIP_1) | instid1(VALU_DEP_2)
	v_dual_add_f32 v2, v2, v32 :: v_dual_add_f32 v3, v3, v33
	v_sub_f32_e32 v53, v37, v35
	v_dual_add_f32 v51, v44, v45 :: v_dual_add_f32 v2, v2, v34
	s_delay_alu instid0(VALU_DEP_3) | instskip(SKIP_2) | instid1(VALU_DEP_1)
	v_add_f32_e32 v3, v3, v35
	ds_store_2addr_b64 v224, v[46:47], v[2:3] offset1:125
	v_dual_add_f32 v2, v38, v32 :: v_dual_add_f32 v3, v36, v34
	v_fma_f32 v2, -0.5, v2, v4
	s_delay_alu instid0(VALU_DEP_2) | instskip(NEXT) | instid1(VALU_DEP_1)
	v_fma_f32 v4, -0.5, v3, v4
	v_dual_sub_f32 v3, v38, v36 :: v_dual_fmamk_f32 v44, v52, 0x3f737871, v4
	s_delay_alu instid0(VALU_DEP_1) | instskip(SKIP_2) | instid1(VALU_DEP_4)
	v_add_f32_e32 v48, v3, v6
	v_dual_add_f32 v3, v39, v33 :: v_dual_add_f32 v6, v37, v35
	v_fmac_f32_e32 v4, 0xbf737871, v52
	v_fmac_f32_e32 v44, 0xbf167918, v53
	s_delay_alu instid0(VALU_DEP_3) | instskip(NEXT) | instid1(VALU_DEP_4)
	v_fma_f32 v3, -0.5, v3, v5
	v_dual_fmac_f32 v5, -0.5, v6 :: v_dual_sub_f32 v6, v39, v37
	s_delay_alu instid0(VALU_DEP_4) | instskip(NEXT) | instid1(VALU_DEP_4)
	v_fmac_f32_e32 v4, 0x3f167918, v53
	v_fmac_f32_e32 v44, 0x3e9e377a, v48
	s_delay_alu instid0(VALU_DEP_3) | instskip(NEXT) | instid1(VALU_DEP_4)
	v_fmamk_f32 v45, v54, 0xbf737871, v5
	v_dual_add_f32 v49, v6, v7 :: v_dual_sub_f32 v6, v24, v26
	v_sub_f32_e32 v7, v18, v16
	v_fmac_f32_e32 v5, 0x3f737871, v54
	v_fmac_f32_e32 v4, 0x3e9e377a, v48
	v_fmac_f32_e32 v45, 0x3f167918, v55
	s_waitcnt lgkmcnt(1)
	v_add_f32_e32 v48, v43, v31
	v_add_f32_e32 v50, v6, v7
	v_dual_add_f32 v6, v26, v16 :: v_dual_add_f32 v7, v27, v17
	v_fmac_f32_e32 v5, 0xbf167918, v55
	v_fmac_f32_e32 v45, 0x3e9e377a, v49
	s_delay_alu instid0(VALU_DEP_3) | instskip(NEXT) | instid1(VALU_DEP_4)
	v_fma_f32 v6, -0.5, v6, v40
	v_fma_f32 v7, -0.5, v7, v41
	s_delay_alu instid0(VALU_DEP_4) | instskip(NEXT) | instid1(VALU_DEP_3)
	v_fmac_f32_e32 v5, 0x3e9e377a, v49
	v_fmamk_f32 v46, v56, 0x3f737871, v6
	s_delay_alu instid0(VALU_DEP_3) | instskip(SKIP_1) | instid1(VALU_DEP_3)
	v_dual_fmac_f32 v6, 0xbf737871, v56 :: v_dual_fmamk_f32 v47, v58, 0xbf737871, v7
	v_fmac_f32_e32 v7, 0x3f737871, v58
	v_fmac_f32_e32 v46, 0xbf167918, v57
	s_delay_alu instid0(VALU_DEP_3) | instskip(NEXT) | instid1(VALU_DEP_3)
	v_dual_fmac_f32 v6, 0x3f167918, v57 :: v_dual_fmac_f32 v47, 0x3f167918, v59
	v_fmac_f32_e32 v7, 0xbf167918, v59
	s_delay_alu instid0(VALU_DEP_3) | instskip(NEXT) | instid1(VALU_DEP_3)
	v_fmac_f32_e32 v46, 0x3e9e377a, v50
	v_dual_fmac_f32 v6, 0x3e9e377a, v50 :: v_dual_fmac_f32 v47, 0x3e9e377a, v51
	s_delay_alu instid0(VALU_DEP_3)
	v_dual_fmac_f32 v7, 0x3e9e377a, v51 :: v_dual_add_f32 v50, v0, v28
	ds_store_2addr_b64 v245, v[44:45], v[46:47] offset0:95 offset1:220
	ds_store_2addr_b64 v164, v[4:5], v[6:7] offset0:80 offset1:205
	v_dual_sub_f32 v6, v37, v39 :: v_dual_sub_f32 v7, v35, v33
	v_dual_sub_f32 v4, v36, v38 :: v_dual_sub_f32 v5, v34, v32
	;; [unrolled: 1-line block ×3, first 2 shown]
	s_delay_alu instid0(VALU_DEP_3) | instskip(NEXT) | instid1(VALU_DEP_3)
	v_dual_add_f32 v39, v6, v7 :: v_dual_add_f32 v6, v24, v18
	v_dual_add_f32 v7, v25, v19 :: v_dual_add_f32 v38, v4, v5
	v_fmamk_f32 v4, v53, 0xbf737871, v2
	v_fmac_f32_e32 v2, 0x3f737871, v53
	s_delay_alu instid0(VALU_DEP_4) | instskip(NEXT) | instid1(VALU_DEP_4)
	v_fma_f32 v6, -0.5, v6, v40
	v_fma_f32 v7, -0.5, v7, v41
	v_fmamk_f32 v5, v55, 0x3f737871, v3
	v_dual_fmac_f32 v3, 0xbf737871, v55 :: v_dual_add_f32 v44, v32, v33
	s_delay_alu instid0(VALU_DEP_4) | instskip(NEXT) | instid1(VALU_DEP_4)
	v_fmamk_f32 v32, v57, 0xbf737871, v6
	v_dual_fmac_f32 v6, 0x3f737871, v57 :: v_dual_fmamk_f32 v33, v59, 0x3f737871, v7
	v_dual_fmac_f32 v7, 0xbf737871, v59 :: v_dual_sub_f32 v34, v27, v25
	v_dual_sub_f32 v35, v17, v19 :: v_dual_fmac_f32 v2, 0x3f167918, v52
	v_fmac_f32_e32 v3, 0xbf167918, v54
	s_delay_alu instid0(VALU_DEP_4) | instskip(NEXT) | instid1(VALU_DEP_4)
	v_fmac_f32_e32 v6, 0x3f167918, v56
	v_fmac_f32_e32 v7, 0xbf167918, v58
	s_delay_alu instid0(VALU_DEP_4) | instskip(NEXT) | instid1(VALU_DEP_3)
	v_dual_add_f32 v45, v34, v35 :: v_dual_fmac_f32 v2, 0x3e9e377a, v38
	v_dual_fmac_f32 v3, 0x3e9e377a, v39 :: v_dual_fmac_f32 v6, 0x3e9e377a, v44
	s_delay_alu instid0(VALU_DEP_2)
	v_dual_add_f32 v46, v42, v30 :: v_dual_fmac_f32 v7, 0x3e9e377a, v45
	v_sub_f32_e32 v34, v20, v28
	v_sub_f32_e32 v35, v10, v8
	v_add_f32_e32 v53, v1, v29
	v_sub_f32_e32 v57, v23, v13
	ds_store_2addr_b64 v233, v[2:3], v[6:7] offset0:65 offset1:190
	v_add_f32_e32 v2, v22, v12
	v_add_f32_e32 v3, v30, v14
	v_dual_sub_f32 v6, v12, v14 :: v_dual_sub_f32 v7, v13, v15
	v_add_f32_e32 v51, v34, v35
	s_delay_alu instid0(VALU_DEP_4) | instskip(NEXT) | instid1(VALU_DEP_4)
	v_fma_f32 v2, -0.5, v2, v42
	v_fma_f32 v42, -0.5, v3, v42
	v_dual_sub_f32 v3, v22, v30 :: v_dual_add_f32 v34, v29, v9
	v_sub_f32_e32 v35, v11, v9
	v_dual_sub_f32 v59, v31, v15 :: v_dual_sub_f32 v30, v30, v22
	s_delay_alu instid0(VALU_DEP_3)
	v_add_f32_e32 v47, v3, v6
	v_add_f32_e32 v3, v23, v13
	;; [unrolled: 1-line block ×3, first 2 shown]
	v_fmac_f32_e32 v4, 0xbf167918, v52
	v_fmac_f32_e32 v5, 0x3f167918, v54
	;; [unrolled: 1-line block ×3, first 2 shown]
	v_fma_f32 v3, -0.5, v3, v43
	v_dual_fmac_f32 v43, -0.5, v6 :: v_dual_sub_f32 v6, v23, v31
	v_fmac_f32_e32 v33, 0x3f167918, v58
	v_dual_fmac_f32 v4, 0x3e9e377a, v38 :: v_dual_fmac_f32 v5, 0x3e9e377a, v39
	s_delay_alu instid0(VALU_DEP_3) | instskip(SKIP_3) | instid1(VALU_DEP_3)
	v_dual_fmac_f32 v32, 0x3e9e377a, v44 :: v_dual_add_f32 v49, v6, v7
	v_add_f32_e32 v6, v20, v10
	v_add_f32_e32 v7, v28, v8
	v_dual_sub_f32 v28, v28, v20 :: v_dual_fmac_f32 v33, 0x3e9e377a, v45
	v_fma_f32 v6, -0.5, v6, v0
	s_delay_alu instid0(VALU_DEP_3)
	v_fma_f32 v0, -0.5, v7, v0
	v_add_f32_e32 v7, v21, v11
	ds_store_2addr_b64 v246, v[4:5], v[32:33] offset0:110 offset1:235
	v_fmamk_f32 v36, v62, 0x3f737871, v0
	v_fma_f32 v7, -0.5, v7, v1
	v_dual_fmac_f32 v1, -0.5, v34 :: v_dual_sub_f32 v34, v21, v29
	v_fmac_f32_e32 v0, 0xbf737871, v62
	s_delay_alu instid0(VALU_DEP_4) | instskip(NEXT) | instid1(VALU_DEP_3)
	v_fmac_f32_e32 v36, 0xbf167918, v63
	v_fmamk_f32 v37, v64, 0xbf737871, v1
	s_delay_alu instid0(VALU_DEP_4) | instskip(SKIP_1) | instid1(VALU_DEP_4)
	v_dual_add_f32 v55, v34, v35 :: v_dual_fmamk_f32 v34, v57, 0x3f737871, v42
	v_fmamk_f32 v35, v60, 0xbf737871, v43
	v_fmac_f32_e32 v36, 0x3e9e377a, v51
	s_delay_alu instid0(VALU_DEP_4)
	v_fmac_f32_e32 v37, 0x3f167918, v65
	v_fmac_f32_e32 v42, 0xbf737871, v57
	;; [unrolled: 1-line block ×7, first 2 shown]
	s_delay_alu instid0(VALU_DEP_4)
	v_dual_fmac_f32 v34, 0x3e9e377a, v47 :: v_dual_fmac_f32 v35, 0x3e9e377a, v49
	v_fmac_f32_e32 v42, 0x3f167918, v59
	v_fmac_f32_e32 v43, 0xbf167918, v61
	;; [unrolled: 1-line block ×4, first 2 shown]
	ds_store_2addr_b64 v234, v[34:35], v[36:37] offset0:89 offset1:214
	v_sub_f32_e32 v34, v14, v12
	v_dual_fmac_f32 v42, 0x3e9e377a, v47 :: v_dual_fmac_f32 v43, 0x3e9e377a, v49
	v_fmac_f32_e32 v0, 0x3e9e377a, v51
	s_delay_alu instid0(VALU_DEP_3)
	v_dual_fmac_f32 v1, 0x3e9e377a, v55 :: v_dual_add_f32 v34, v30, v34
	v_sub_f32_e32 v30, v31, v23
	v_sub_f32_e32 v31, v15, v13
	ds_store_2addr_b64 v255, v[42:43], v[0:1] offset0:74 offset1:199
	v_dual_add_f32 v0, v40, v26 :: v_dual_add_f32 v1, v41, v27
	v_dual_add_f32 v35, v30, v31 :: v_dual_sub_f32 v30, v8, v10
	v_fmamk_f32 v31, v65, 0x3f737871, v7
	s_delay_alu instid0(VALU_DEP_3) | instskip(NEXT) | instid1(VALU_DEP_3)
	v_dual_fmac_f32 v7, 0xbf737871, v65 :: v_dual_add_f32 v0, v0, v24
	v_dual_add_f32 v1, v1, v25 :: v_dual_add_f32 v36, v28, v30
	v_sub_f32_e32 v28, v29, v21
	v_dual_sub_f32 v29, v9, v11 :: v_dual_fmamk_f32 v30, v63, 0xbf737871, v6
	v_fmac_f32_e32 v6, 0x3f737871, v63
	v_dual_fmac_f32 v7, 0xbf167918, v64 :: v_dual_add_f32 v0, v0, v18
	s_delay_alu instid0(VALU_DEP_3) | instskip(SKIP_3) | instid1(VALU_DEP_4)
	v_dual_add_f32 v37, v28, v29 :: v_dual_fmamk_f32 v28, v59, 0xbf737871, v2
	v_dual_fmac_f32 v2, 0x3f737871, v59 :: v_dual_fmamk_f32 v29, v61, 0x3f737871, v3
	v_fmac_f32_e32 v3, 0xbf737871, v61
	v_fmac_f32_e32 v6, 0x3f167918, v62
	;; [unrolled: 1-line block ×3, first 2 shown]
	s_delay_alu instid0(VALU_DEP_4) | instskip(NEXT) | instid1(VALU_DEP_4)
	v_dual_fmac_f32 v2, 0x3f167918, v57 :: v_dual_add_f32 v1, v1, v19
	v_fmac_f32_e32 v3, 0xbf167918, v60
	s_delay_alu instid0(VALU_DEP_4) | instskip(SKIP_1) | instid1(VALU_DEP_4)
	v_fmac_f32_e32 v6, 0x3e9e377a, v36
	v_add_f32_e32 v0, v0, v16
	v_dual_fmac_f32 v2, 0x3e9e377a, v34 :: v_dual_add_f32 v1, v1, v17
	s_delay_alu instid0(VALU_DEP_4)
	v_fmac_f32_e32 v3, 0x3e9e377a, v35
	v_fmac_f32_e32 v28, 0xbf167918, v57
	;; [unrolled: 1-line block ×5, first 2 shown]
	ds_store_2addr_b64 v221, v[2:3], v[6:7] offset0:59 offset1:184
	v_dual_add_f32 v2, v46, v22 :: v_dual_add_f32 v3, v48, v23
	v_dual_fmac_f32 v28, 0x3e9e377a, v34 :: v_dual_fmac_f32 v29, 0x3e9e377a, v35
	v_fmac_f32_e32 v30, 0x3e9e377a, v36
	s_delay_alu instid0(VALU_DEP_3) | instskip(NEXT) | instid1(VALU_DEP_1)
	v_dual_add_f32 v2, v2, v12 :: v_dual_add_f32 v3, v3, v13
	v_dual_fmac_f32 v31, 0x3e9e377a, v37 :: v_dual_add_f32 v2, v2, v14
	s_delay_alu instid0(VALU_DEP_2) | instskip(SKIP_3) | instid1(VALU_DEP_1)
	v_add_f32_e32 v3, v3, v15
	ds_store_2addr_b64 v222, v[28:29], v[30:31] offset0:104 offset1:229
	ds_store_2addr_b64 v223, v[0:1], v[2:3] offset0:122 offset1:247
	v_dual_add_f32 v0, v50, v20 :: v_dual_add_f32 v1, v53, v21
	v_dual_add_f32 v0, v0, v10 :: v_dual_add_f32 v1, v1, v11
	s_delay_alu instid0(VALU_DEP_1)
	v_dual_add_f32 v0, v0, v8 :: v_dual_add_f32 v1, v1, v9
	ds_store_b64 v224, v[0:1] offset:4000
	s_waitcnt lgkmcnt(0)
	s_barrier
	buffer_gl0_inv
	scratch_load_b64 v[6:7], off, off offset:276 ; 8-byte Folded Reload
	ds_load_2addr_b64 v[2:5], v224 offset1:125
	s_clause 0x3
	scratch_load_b64 v[11:12], off, off offset:120
	scratch_load_b64 v[16:17], off, off offset:128
	;; [unrolled: 1-line block ×3, first 2 shown]
	scratch_load_b32 v54, off, off offset:152
	s_waitcnt vmcnt(4) lgkmcnt(0)
	v_mul_f32_e32 v0, v7, v3
	v_mul_f32_e32 v1, v7, v2
	s_delay_alu instid0(VALU_DEP_2) | instskip(NEXT) | instid1(VALU_DEP_2)
	v_fmac_f32_e32 v0, v6, v2
	v_fma_f32 v1, v6, v3, -v1
	scratch_load_b64 v[6:7], off, off offset:136 ; 8-byte Folded Reload
	s_waitcnt vmcnt(0)
	v_mul_f32_e32 v3, v7, v5
	v_mul_f32_e32 v2, v7, v4
	s_delay_alu instid0(VALU_DEP_2) | instskip(NEXT) | instid1(VALU_DEP_2)
	v_fmac_f32_e32 v3, v6, v4
	v_fma_f32 v5, v6, v5, -v2
	ds_load_2addr_b64 v[6:9], v172 offset0:98 offset1:223
	s_waitcnt lgkmcnt(0)
	v_mul_f32_e32 v10, v12, v7
	v_mul_f32_e32 v2, v12, v6
	ds_load_2addr_b64 v[12:15], v235 offset0:68 offset1:193
	v_fmac_f32_e32 v10, v11, v6
	v_fma_f32 v11, v11, v7, -v2
	scratch_load_b64 v[6:7], off, off offset:144 ; 8-byte Folded Reload
	s_waitcnt vmcnt(0)
	v_mul_f32_e32 v2, v7, v9
	s_waitcnt lgkmcnt(0)
	v_dual_mul_f32 v4, v7, v8 :: v_dual_mul_f32 v7, v253, v14
	s_delay_alu instid0(VALU_DEP_2) | instskip(NEXT) | instid1(VALU_DEP_2)
	v_fmac_f32_e32 v2, v6, v8
	v_fma_f32 v4, v6, v9, -v4
	v_mul_f32_e32 v8, v17, v13
	v_mul_f32_e32 v6, v17, v12
	scratch_load_b64 v[17:18], off, off offset:112 ; 8-byte Folded Reload
	v_fma_f32 v7, v252, v15, -v7
	v_fmac_f32_e32 v8, v16, v12
	v_fma_f32 v9, v16, v13, -v6
	v_mul_f32_e32 v6, v253, v15
	s_delay_alu instid0(VALU_DEP_1) | instskip(SKIP_3) | instid1(VALU_DEP_1)
	v_fmac_f32_e32 v6, v252, v14
	ds_load_2addr_b64 v[13:16], v246 offset0:110 offset1:235
	s_waitcnt lgkmcnt(0)
	v_mul_f32_e32 v12, v248, v14
	v_fmac_f32_e32 v12, v247, v13
	v_mul_f32_e32 v13, v248, v13
	s_delay_alu instid0(VALU_DEP_1) | instskip(SKIP_2) | instid1(VALU_DEP_1)
	v_fma_f32 v13, v247, v14, -v13
	s_waitcnt vmcnt(0)
	v_mul_f32_e32 v14, v18, v16
	v_fmac_f32_e32 v14, v17, v15
	v_mul_f32_e32 v15, v18, v15
	s_delay_alu instid0(VALU_DEP_1) | instskip(SKIP_3) | instid1(VALU_DEP_1)
	v_fma_f32 v22, v17, v16, -v15
	ds_load_2addr_b64 v[15:18], v164 offset0:80 offset1:205
	s_waitcnt lgkmcnt(0)
	v_mul_f32_e32 v23, v20, v16
	v_fmac_f32_e32 v23, v19, v15
	v_mul_f32_e32 v15, v20, v15
	s_delay_alu instid0(VALU_DEP_1)
	v_fma_f32 v24, v19, v16, -v15
	scratch_load_b64 v[19:20], off, off offset:104 ; 8-byte Folded Reload
	s_waitcnt vmcnt(0)
	v_mul_f32_e32 v15, v20, v18
	v_mul_f32_e32 v16, v20, v17
	scratch_load_b64 v[20:21], off, off offset:172 ; 8-byte Folded Reload
	v_fmac_f32_e32 v15, v19, v17
	v_fma_f32 v25, v19, v18, -v16
	ds_load_2addr_b64 v[16:19], v223 offset0:122 offset1:247
	s_waitcnt lgkmcnt(0)
	v_mul_f32_e32 v26, v251, v17
	s_delay_alu instid0(VALU_DEP_1) | instskip(SKIP_1) | instid1(VALU_DEP_1)
	v_fmac_f32_e32 v26, v250, v16
	v_mul_f32_e32 v16, v251, v16
	v_fma_f32 v27, v250, v17, -v16
	s_waitcnt vmcnt(0)
	v_mul_f32_e32 v28, v21, v19
	v_mul_f32_e32 v16, v21, v18
	s_delay_alu instid0(VALU_DEP_2) | instskip(NEXT) | instid1(VALU_DEP_2)
	v_fmac_f32_e32 v28, v20, v18
	v_fma_f32 v29, v20, v19, -v16
	scratch_load_b64 v[20:21], off, off offset:156 ; 8-byte Folded Reload
	ds_load_2addr_b64 v[16:19], v168 offset0:92 offset1:217
	s_waitcnt vmcnt(0) lgkmcnt(0)
	v_mul_f32_e32 v30, v21, v17
	s_delay_alu instid0(VALU_DEP_1) | instskip(SKIP_1) | instid1(VALU_DEP_1)
	v_fmac_f32_e32 v30, v20, v16
	v_mul_f32_e32 v16, v21, v16
	v_fma_f32 v31, v20, v17, -v16
	scratch_load_b64 v[20:21], off, off offset:88 ; 8-byte Folded Reload
	s_waitcnt vmcnt(0)
	v_mul_f32_e32 v32, v21, v19
	v_mul_f32_e32 v16, v21, v18
	s_delay_alu instid0(VALU_DEP_2) | instskip(NEXT) | instid1(VALU_DEP_2)
	v_fmac_f32_e32 v32, v20, v18
	v_fma_f32 v33, v20, v19, -v16
	scratch_load_b64 v[20:21], off, off offset:72 ; 8-byte Folded Reload
	ds_load_2addr_b64 v[16:19], v165 offset0:62 offset1:187
	s_waitcnt vmcnt(0) lgkmcnt(0)
	v_mul_f32_e32 v34, v21, v17
	s_delay_alu instid0(VALU_DEP_1) | instskip(SKIP_1) | instid1(VALU_DEP_1)
	v_fmac_f32_e32 v34, v20, v16
	v_mul_f32_e32 v16, v21, v16
	v_fma_f32 v35, v20, v17, -v16
	scratch_load_b64 v[20:21], off, off offset:80 ; 8-byte Folded Reload
	s_waitcnt vmcnt(0)
	v_mul_f32_e32 v36, v21, v19
	v_mul_f32_e32 v16, v21, v18
	s_delay_alu instid0(VALU_DEP_2) | instskip(NEXT) | instid1(VALU_DEP_2)
	v_fmac_f32_e32 v36, v20, v18
	v_fma_f32 v37, v20, v19, -v16
	scratch_load_b64 v[20:21], off, off offset:24 ; 8-byte Folded Reload
	ds_load_2addr_b64 v[16:19], v249 offset0:116 offset1:241
	s_waitcnt vmcnt(0) lgkmcnt(0)
	v_mul_f32_e32 v38, v21, v19
	s_delay_alu instid0(VALU_DEP_1) | instskip(SKIP_1) | instid1(VALU_DEP_1)
	v_fmac_f32_e32 v38, v20, v18
	v_mul_f32_e32 v18, v21, v18
	v_fma_f32 v39, v20, v19, -v18
	s_clause 0x1
	scratch_load_b64 v[18:19], off, off offset:64
	scratch_load_b64 v[20:21], off, off offset:32
	s_waitcnt vmcnt(1)
	v_mul_f32_e32 v40, v19, v17
	s_delay_alu instid0(VALU_DEP_1) | instskip(SKIP_1) | instid1(VALU_DEP_1)
	v_fmac_f32_e32 v40, v18, v16
	v_mul_f32_e32 v16, v19, v16
	v_fma_f32 v41, v18, v17, -v16
	ds_load_2addr_b64 v[16:19], v222 offset0:104 offset1:229
	s_waitcnt vmcnt(0) lgkmcnt(0)
	v_mul_f32_e32 v42, v21, v17
	s_delay_alu instid0(VALU_DEP_1) | instskip(SKIP_1) | instid1(VALU_DEP_1)
	v_fmac_f32_e32 v42, v20, v16
	v_mul_f32_e32 v16, v21, v16
	v_fma_f32 v43, v20, v17, -v16
	scratch_load_b64 v[20:21], off, off offset:48 ; 8-byte Folded Reload
	s_waitcnt vmcnt(0)
	v_mul_f32_e32 v44, v21, v19
	v_mul_f32_e32 v16, v21, v18
	s_delay_alu instid0(VALU_DEP_2) | instskip(NEXT) | instid1(VALU_DEP_2)
	v_fmac_f32_e32 v44, v20, v18
	v_fma_f32 v45, v20, v19, -v16
	scratch_load_b64 v[20:21], off, off offset:8 ; 8-byte Folded Reload
	ds_load_2addr_b64 v[16:19], v70 offset0:86 offset1:211
	s_waitcnt vmcnt(0) lgkmcnt(0)
	v_mul_f32_e32 v46, v21, v19
	s_delay_alu instid0(VALU_DEP_1) | instskip(SKIP_1) | instid1(VALU_DEP_1)
	v_fmac_f32_e32 v46, v20, v18
	v_mul_f32_e32 v18, v21, v18
	v_fma_f32 v47, v20, v19, -v18
	s_clause 0x1
	scratch_load_b64 v[18:19], off, off offset:56
	scratch_load_b64 v[20:21], off, off offset:164
	s_waitcnt vmcnt(1)
	v_mul_f32_e32 v48, v19, v17
	s_delay_alu instid0(VALU_DEP_1) | instskip(SKIP_1) | instid1(VALU_DEP_1)
	v_fmac_f32_e32 v48, v18, v16
	v_mul_f32_e32 v16, v19, v16
	v_fma_f32 v49, v18, v17, -v16
	ds_load_2addr_b64 v[16:19], v255 offset0:74 offset1:199
	s_waitcnt vmcnt(0) lgkmcnt(0)
	v_mul_f32_e32 v50, v21, v17
	s_delay_alu instid0(VALU_DEP_1) | instskip(SKIP_1) | instid1(VALU_DEP_1)
	v_fmac_f32_e32 v50, v20, v16
	v_mul_f32_e32 v16, v21, v16
	v_fma_f32 v51, v20, v17, -v16
	scratch_load_b64 v[20:21], off, off offset:40 ; 8-byte Folded Reload
	s_waitcnt vmcnt(0)
	v_mul_f32_e32 v52, v21, v19
	v_mul_f32_e32 v16, v21, v18
	s_delay_alu instid0(VALU_DEP_2) | instskip(NEXT) | instid1(VALU_DEP_2)
	v_fmac_f32_e32 v52, v20, v18
	v_fma_f32 v53, v20, v19, -v16
	scratch_load_b64 v[20:21], off, off     ; 8-byte Folded Reload
	s_waitcnt vmcnt(0)
	v_mad_u64_u32 v[16:17], null, s6, v20, 0
	s_mul_hi_u32 s6, s4, 0xffffb5c8
	s_delay_alu instid0(SALU_CYCLE_1) | instskip(NEXT) | instid1(VALU_DEP_1)
	s_sub_i32 s6, s6, s4
	v_mad_u64_u32 v[18:19], null, s7, v20, v[17:18]
	s_delay_alu instid0(VALU_DEP_1) | instskip(SKIP_2) | instid1(VALU_DEP_2)
	v_mov_b32_e32 v17, v18
	v_mad_u64_u32 v[18:19], null, s4, v54, 0
	s_mulk_i32 s4, 0xb5c8
	v_lshlrev_b64 v[16:17], 3, v[16:17]
	s_delay_alu instid0(VALU_DEP_2) | instskip(SKIP_1) | instid1(SALU_CYCLE_1)
	v_mad_u64_u32 v[20:21], null, s5, v54, v[19:20]
	s_mulk_i32 s5, 0xb5c8
	s_add_i32 s5, s6, s5
	s_delay_alu instid0(VALU_DEP_1) | instskip(NEXT) | instid1(VALU_DEP_3)
	v_mov_b32_e32 v19, v20
	v_add_co_u32 v20, vcc_lo, s0, v16
	v_add_co_ci_u32_e32 v21, vcc_lo, s1, v17, vcc_lo
	s_delay_alu instid0(VALU_DEP_3) | instskip(SKIP_4) | instid1(VALU_DEP_3)
	v_lshlrev_b64 v[16:17], 3, v[18:19]
	v_cvt_f64_f32_e32 v[18:19], v0
	v_cvt_f64_f32_e32 v[0:1], v1
	s_mov_b32 s0, 0x88e368f1
	s_mov_b32 s1, 0x3f34f8b5
	v_add_co_u32 v16, vcc_lo, v20, v16
	v_add_co_ci_u32_e32 v17, vcc_lo, v21, v17, vcc_lo
	v_cvt_f64_f32_e32 v[20:21], v39
	v_mul_f64 v[18:19], v[18:19], s[0:1]
	v_mul_f64 v[0:1], v[0:1], s[0:1]
	s_delay_alu instid0(VALU_DEP_3) | instskip(NEXT) | instid1(VALU_DEP_3)
	v_mul_f64 v[20:21], v[20:21], s[0:1]
	v_cvt_f32_f64_e32 v18, v[18:19]
	s_delay_alu instid0(VALU_DEP_3)
	v_cvt_f32_f64_e32 v19, v[0:1]
	v_cvt_f64_f32_e32 v[0:1], v38
	v_cvt_f64_f32_e32 v[38:39], v53
	global_store_b64 v[16:17], v[18:19], off
	v_mul_f64 v[0:1], v[0:1], s[0:1]
	v_cvt_f64_f32_e32 v[18:19], v25
	v_mul_f64 v[38:39], v[38:39], s[0:1]
	s_delay_alu instid0(VALU_DEP_3) | instskip(SKIP_4) | instid1(VALU_DEP_3)
	v_cvt_f32_f64_e32 v0, v[0:1]
	v_cvt_f32_f64_e32 v1, v[20:21]
	v_cvt_f64_f32_e32 v[20:21], v10
	v_cvt_f64_f32_e32 v[10:11], v11
	v_mul_f64 v[18:19], v[18:19], s[0:1]
	v_mul_f64 v[20:21], v[20:21], s[0:1]
	s_delay_alu instid0(VALU_DEP_3) | instskip(NEXT) | instid1(VALU_DEP_2)
	v_mul_f64 v[10:11], v[10:11], s[0:1]
	v_cvt_f32_f64_e32 v20, v[20:21]
	s_delay_alu instid0(VALU_DEP_2)
	v_cvt_f32_f64_e32 v21, v[10:11]
	v_add_co_u32 v10, vcc_lo, v16, s3
	v_add_co_ci_u32_e32 v11, vcc_lo, s2, v17, vcc_lo
	v_cvt_f64_f32_e32 v[16:17], v47
	global_store_b64 v[10:11], v[0:1], off
	v_add_co_u32 v0, vcc_lo, v10, s3
	v_add_co_ci_u32_e32 v1, vcc_lo, s2, v11, vcc_lo
	v_cvt_f64_f32_e32 v[10:11], v46
	global_store_b64 v[0:1], v[20:21], off
	v_add_co_u32 v0, vcc_lo, v0, s3
	v_add_co_ci_u32_e32 v1, vcc_lo, s2, v1, vcc_lo
	v_mul_f64 v[16:17], v[16:17], s[0:1]
	v_cvt_f64_f32_e32 v[20:21], v35
	v_mul_f64 v[10:11], v[10:11], s[0:1]
	s_delay_alu instid0(VALU_DEP_1) | instskip(NEXT) | instid1(VALU_DEP_4)
	v_cvt_f32_f64_e32 v10, v[10:11]
	v_cvt_f32_f64_e32 v11, v[16:17]
	v_cvt_f64_f32_e32 v[16:17], v8
	v_cvt_f64_f32_e32 v[8:9], v9
	global_store_b64 v[0:1], v[10:11], off
	v_mul_f64 v[16:17], v[16:17], s[0:1]
	v_mul_f64 v[8:9], v[8:9], s[0:1]
	v_cvt_f64_f32_e32 v[10:11], v5
	v_cvt_f64_f32_e32 v[4:5], v4
	v_add_co_u32 v0, vcc_lo, v0, s3
	v_add_co_ci_u32_e32 v1, vcc_lo, s2, v1, vcc_lo
	v_cvt_f32_f64_e32 v16, v[16:17]
	v_cvt_f32_f64_e32 v17, v[8:9]
	v_cvt_f64_f32_e32 v[8:9], v3
	v_mul_f64 v[10:11], v[10:11], s[0:1]
	v_cvt_f64_f32_e32 v[2:3], v2
	v_mul_f64 v[4:5], v[4:5], s[0:1]
	global_store_b64 v[0:1], v[16:17], off
	v_mul_f64 v[8:9], v[8:9], s[0:1]
	v_add_co_u32 v0, vcc_lo, v0, s4
	v_mul_f64 v[2:3], v[2:3], s[0:1]
	v_add_co_ci_u32_e32 v1, vcc_lo, s5, v1, vcc_lo
	v_cvt_f64_f32_e32 v[16:17], v14
	v_cvt_f64_f32_e32 v[14:15], v15
	v_cvt_f32_f64_e32 v8, v[8:9]
	v_cvt_f32_f64_e32 v9, v[10:11]
	v_cvt_f64_f32_e32 v[10:11], v12
	v_cvt_f64_f32_e32 v[12:13], v13
	v_cvt_f32_f64_e32 v2, v[2:3]
	v_cvt_f32_f64_e32 v3, v[4:5]
	v_cvt_f64_f32_e32 v[4:5], v23
	v_mul_f64 v[14:15], v[14:15], s[0:1]
	global_store_b64 v[0:1], v[8:9], off
	v_cvt_f64_f32_e32 v[8:9], v24
	v_mul_f64 v[10:11], v[10:11], s[0:1]
	v_mul_f64 v[12:13], v[12:13], s[0:1]
	v_add_co_u32 v0, vcc_lo, v0, s3
	v_mul_f64 v[4:5], v[4:5], s[0:1]
	v_add_co_ci_u32_e32 v1, vcc_lo, s2, v1, vcc_lo
	v_cvt_f64_f32_e32 v[24:25], v51
	v_mul_f64 v[8:9], v[8:9], s[0:1]
	v_cvt_f32_f64_e32 v10, v[10:11]
	v_cvt_f32_f64_e32 v11, v[12:13]
	v_cvt_f64_f32_e32 v[12:13], v27
	v_cvt_f32_f64_e32 v4, v[4:5]
	v_mul_f64 v[24:25], v[24:25], s[0:1]
	v_cvt_f32_f64_e32 v5, v[8:9]
	v_cvt_f64_f32_e32 v[8:9], v6
	v_cvt_f64_f32_e32 v[6:7], v7
	global_store_b64 v[0:1], v[10:11], off
	v_add_co_u32 v0, vcc_lo, v0, s3
	v_add_co_ci_u32_e32 v1, vcc_lo, s2, v1, vcc_lo
	v_cvt_f64_f32_e32 v[10:11], v26
	v_mul_f64 v[12:13], v[12:13], s[0:1]
	v_cvt_f64_f32_e32 v[26:27], v36
	global_store_b64 v[0:1], v[2:3], off
	v_mul_f64 v[2:3], v[16:17], s[0:1]
	v_cvt_f64_f32_e32 v[16:17], v31
	v_add_co_u32 v0, vcc_lo, v0, s3
	v_add_co_ci_u32_e32 v1, vcc_lo, s2, v1, vcc_lo
	global_store_b64 v[0:1], v[4:5], off
	v_mul_f64 v[8:9], v[8:9], s[0:1]
	v_mul_f64 v[6:7], v[6:7], s[0:1]
	v_add_co_u32 v0, vcc_lo, v0, s3
	v_add_co_ci_u32_e32 v1, vcc_lo, s2, v1, vcc_lo
	v_mul_f64 v[10:11], v[10:11], s[0:1]
	v_mul_f64 v[26:27], v[26:27], s[0:1]
	v_cvt_f32_f64_e32 v2, v[2:3]
	v_mul_f64 v[16:17], v[16:17], s[0:1]
	v_cvt_f32_f64_e32 v8, v[8:9]
	v_cvt_f32_f64_e32 v9, v[6:7]
	v_cvt_f64_f32_e32 v[6:7], v22
	ds_load_b64 v[22:23], v224 offset:24000
	v_cvt_f32_f64_e32 v10, v[10:11]
	v_cvt_f32_f64_e32 v11, v[12:13]
	v_cvt_f64_f32_e32 v[12:13], v30
	v_cvt_f32_f64_e32 v5, v[16:17]
	global_store_b64 v[0:1], v[8:9], off
	v_cvt_f32_f64_e32 v8, v[14:15]
	scratch_load_b64 v[15:16], off, off offset:16 ; 8-byte Folded Reload
	v_mul_f64 v[6:7], v[6:7], s[0:1]
	v_cvt_f32_f64_e32 v9, v[18:19]
	v_add_co_u32 v0, vcc_lo, v0, s4
	v_add_co_ci_u32_e32 v1, vcc_lo, s5, v1, vcc_lo
	v_mul_f64 v[12:13], v[12:13], s[0:1]
	global_store_b64 v[0:1], v[10:11], off
	v_add_co_u32 v0, vcc_lo, v0, s3
	v_add_co_ci_u32_e32 v1, vcc_lo, s2, v1, vcc_lo
	v_cvt_f64_f32_e32 v[10:11], v42
	s_delay_alu instid0(VALU_DEP_3) | instskip(NEXT) | instid1(VALU_DEP_3)
	v_add_co_u32 v18, vcc_lo, v0, s3
	v_add_co_ci_u32_e32 v19, vcc_lo, s2, v1, vcc_lo
	s_delay_alu instid0(VALU_DEP_2) | instskip(NEXT) | instid1(VALU_DEP_2)
	v_add_co_u32 v30, vcc_lo, v18, s3
	v_add_co_ci_u32_e32 v31, vcc_lo, s2, v19, vcc_lo
	v_cvt_f32_f64_e32 v3, v[6:7]
	v_cvt_f64_f32_e32 v[6:7], v34
	v_cvt_f64_f32_e32 v[34:35], v41
	v_cvt_f32_f64_e32 v4, v[12:13]
	v_mul_f64 v[12:13], v[20:21], s[0:1]
	v_cvt_f64_f32_e32 v[20:21], v33
	v_mul_f64 v[10:11], v[10:11], s[0:1]
	global_store_b64 v[0:1], v[2:3], off
	v_mul_f64 v[6:7], v[6:7], s[0:1]
	v_cvt_f64_f32_e32 v[0:1], v43
	v_cvt_f64_f32_e32 v[2:3], v32
	;; [unrolled: 1-line block ×3, first 2 shown]
	global_store_b64 v[18:19], v[4:5], off
	global_store_b64 v[30:31], v[8:9], off
	v_cvt_f32_f64_e32 v5, v[12:13]
	v_cvt_f64_f32_e32 v[8:9], v45
	v_add_co_u32 v12, vcc_lo, v30, s3
	v_add_co_ci_u32_e32 v13, vcc_lo, s2, v31, vcc_lo
	v_cvt_f64_f32_e32 v[18:19], v48
	v_cvt_f64_f32_e32 v[30:31], v49
	v_mul_f64 v[20:21], v[20:21], s[0:1]
	v_mul_f64 v[34:35], v[34:35], s[0:1]
	v_cvt_f32_f64_e32 v10, v[10:11]
	v_cvt_f32_f64_e32 v4, v[6:7]
	v_cvt_f64_f32_e32 v[6:7], v44
	v_mul_f64 v[0:1], v[0:1], s[0:1]
	v_mul_f64 v[2:3], v[2:3], s[0:1]
	;; [unrolled: 1-line block ×6, first 2 shown]
	global_store_b64 v[12:13], v[4:5], off
	v_mul_f64 v[6:7], v[6:7], s[0:1]
	v_cvt_f32_f64_e32 v11, v[0:1]
	v_cvt_f32_f64_e32 v0, v[2:3]
	;; [unrolled: 1-line block ×3, first 2 shown]
	v_add_co_u32 v20, vcc_lo, v12, s4
	v_cvt_f32_f64_e32 v3, v[24:25]
	v_add_co_ci_u32_e32 v21, vcc_lo, s5, v13, vcc_lo
	s_delay_alu instid0(VALU_DEP_3) | instskip(SKIP_1) | instid1(VALU_DEP_3)
	v_add_co_u32 v24, vcc_lo, v20, s3
	v_cvt_f32_f64_e32 v18, v[18:19]
	v_add_co_ci_u32_e32 v25, vcc_lo, s2, v21, vcc_lo
	v_cvt_f32_f64_e32 v19, v[30:31]
	v_cvt_f32_f64_e32 v6, v[6:7]
	;; [unrolled: 1-line block ×3, first 2 shown]
	v_add_co_u32 v8, vcc_lo, v24, s3
	v_add_co_ci_u32_e32 v9, vcc_lo, s2, v25, vcc_lo
	s_delay_alu instid0(VALU_DEP_2) | instskip(NEXT) | instid1(VALU_DEP_2)
	v_add_co_u32 v30, vcc_lo, v8, s3
	v_add_co_ci_u32_e32 v31, vcc_lo, s2, v9, vcc_lo
	s_delay_alu instid0(VALU_DEP_2) | instskip(NEXT) | instid1(VALU_DEP_2)
	;; [unrolled: 3-line block ×3, first 2 shown]
	v_add_co_u32 v12, vcc_lo, v4, s4
	v_add_co_ci_u32_e32 v13, vcc_lo, s5, v5, vcc_lo
	s_waitcnt vmcnt(0) lgkmcnt(0)
	v_mul_f32_e32 v46, v16, v23
	v_mul_f32_e32 v14, v16, v22
	v_cvt_f64_f32_e32 v[16:17], v29
	s_delay_alu instid0(VALU_DEP_3) | instskip(NEXT) | instid1(VALU_DEP_3)
	v_fmac_f32_e32 v46, v15, v22
	v_fma_f32 v47, v15, v23, -v14
	v_cvt_f64_f32_e32 v[14:15], v28
	v_cvt_f64_f32_e32 v[22:23], v50
	;; [unrolled: 1-line block ×6, first 2 shown]
	v_mul_f64 v[16:17], v[16:17], s[0:1]
	v_mul_f64 v[14:15], v[14:15], s[0:1]
	;; [unrolled: 1-line block ×7, first 2 shown]
	v_cvt_f32_f64_e32 v14, v[14:15]
	v_cvt_f32_f64_e32 v15, v[16:17]
	;; [unrolled: 1-line block ×11, first 2 shown]
	global_store_b64 v[20:21], v[14:15], off
	global_store_b64 v[24:25], v[10:11], off
	v_add_co_u32 v10, vcc_lo, v12, s3
	v_add_co_ci_u32_e32 v11, vcc_lo, s2, v13, vcc_lo
	global_store_b64 v[8:9], v[0:1], off
	v_add_co_u32 v0, vcc_lo, v10, s3
	v_add_co_ci_u32_e32 v1, vcc_lo, s2, v11, vcc_lo
	;; [unrolled: 3-line block ×4, first 2 shown]
	global_store_b64 v[12:13], v[22:23], off
	global_store_b64 v[10:11], v[6:7], off
	;; [unrolled: 1-line block ×5, first 2 shown]
.LBB0_2:
	s_nop 0
	s_sendmsg sendmsg(MSG_DEALLOC_VGPRS)
	s_endpgm
	.section	.rodata,"a",@progbits
	.p2align	6, 0x0
	.amdhsa_kernel bluestein_single_fwd_len3125_dim1_sp_op_CI_CI
		.amdhsa_group_segment_fixed_size 25000
		.amdhsa_private_segment_fixed_size 288
		.amdhsa_kernarg_size 104
		.amdhsa_user_sgpr_count 15
		.amdhsa_user_sgpr_dispatch_ptr 0
		.amdhsa_user_sgpr_queue_ptr 0
		.amdhsa_user_sgpr_kernarg_segment_ptr 1
		.amdhsa_user_sgpr_dispatch_id 0
		.amdhsa_user_sgpr_private_segment_size 0
		.amdhsa_wavefront_size32 1
		.amdhsa_uses_dynamic_stack 0
		.amdhsa_enable_private_segment 1
		.amdhsa_system_sgpr_workgroup_id_x 1
		.amdhsa_system_sgpr_workgroup_id_y 0
		.amdhsa_system_sgpr_workgroup_id_z 0
		.amdhsa_system_sgpr_workgroup_info 0
		.amdhsa_system_vgpr_workitem_id 0
		.amdhsa_next_free_vgpr 256
		.amdhsa_next_free_sgpr 20
		.amdhsa_reserve_vcc 1
		.amdhsa_float_round_mode_32 0
		.amdhsa_float_round_mode_16_64 0
		.amdhsa_float_denorm_mode_32 3
		.amdhsa_float_denorm_mode_16_64 3
		.amdhsa_dx10_clamp 1
		.amdhsa_ieee_mode 1
		.amdhsa_fp16_overflow 0
		.amdhsa_workgroup_processor_mode 1
		.amdhsa_memory_ordered 1
		.amdhsa_forward_progress 0
		.amdhsa_shared_vgpr_count 0
		.amdhsa_exception_fp_ieee_invalid_op 0
		.amdhsa_exception_fp_denorm_src 0
		.amdhsa_exception_fp_ieee_div_zero 0
		.amdhsa_exception_fp_ieee_overflow 0
		.amdhsa_exception_fp_ieee_underflow 0
		.amdhsa_exception_fp_ieee_inexact 0
		.amdhsa_exception_int_div_zero 0
	.end_amdhsa_kernel
	.text
.Lfunc_end0:
	.size	bluestein_single_fwd_len3125_dim1_sp_op_CI_CI, .Lfunc_end0-bluestein_single_fwd_len3125_dim1_sp_op_CI_CI
                                        ; -- End function
	.section	.AMDGPU.csdata,"",@progbits
; Kernel info:
; codeLenInByte = 33964
; NumSgprs: 22
; NumVgprs: 256
; ScratchSize: 288
; MemoryBound: 0
; FloatMode: 240
; IeeeMode: 1
; LDSByteSize: 25000 bytes/workgroup (compile time only)
; SGPRBlocks: 2
; VGPRBlocks: 31
; NumSGPRsForWavesPerEU: 22
; NumVGPRsForWavesPerEU: 256
; Occupancy: 5
; WaveLimiterHint : 1
; COMPUTE_PGM_RSRC2:SCRATCH_EN: 1
; COMPUTE_PGM_RSRC2:USER_SGPR: 15
; COMPUTE_PGM_RSRC2:TRAP_HANDLER: 0
; COMPUTE_PGM_RSRC2:TGID_X_EN: 1
; COMPUTE_PGM_RSRC2:TGID_Y_EN: 0
; COMPUTE_PGM_RSRC2:TGID_Z_EN: 0
; COMPUTE_PGM_RSRC2:TIDIG_COMP_CNT: 0
	.text
	.p2alignl 7, 3214868480
	.fill 96, 4, 3214868480
	.type	__hip_cuid_da39529e00c68e32,@object ; @__hip_cuid_da39529e00c68e32
	.section	.bss,"aw",@nobits
	.globl	__hip_cuid_da39529e00c68e32
__hip_cuid_da39529e00c68e32:
	.byte	0                               ; 0x0
	.size	__hip_cuid_da39529e00c68e32, 1

	.ident	"AMD clang version 19.0.0git (https://github.com/RadeonOpenCompute/llvm-project roc-6.4.0 25133 c7fe45cf4b819c5991fe208aaa96edf142730f1d)"
	.section	".note.GNU-stack","",@progbits
	.addrsig
	.addrsig_sym __hip_cuid_da39529e00c68e32
	.amdgpu_metadata
---
amdhsa.kernels:
  - .args:
      - .actual_access:  read_only
        .address_space:  global
        .offset:         0
        .size:           8
        .value_kind:     global_buffer
      - .actual_access:  read_only
        .address_space:  global
        .offset:         8
        .size:           8
        .value_kind:     global_buffer
      - .actual_access:  read_only
        .address_space:  global
        .offset:         16
        .size:           8
        .value_kind:     global_buffer
      - .actual_access:  read_only
        .address_space:  global
        .offset:         24
        .size:           8
        .value_kind:     global_buffer
      - .actual_access:  read_only
        .address_space:  global
        .offset:         32
        .size:           8
        .value_kind:     global_buffer
      - .offset:         40
        .size:           8
        .value_kind:     by_value
      - .address_space:  global
        .offset:         48
        .size:           8
        .value_kind:     global_buffer
      - .address_space:  global
        .offset:         56
        .size:           8
        .value_kind:     global_buffer
      - .address_space:  global
        .offset:         64
        .size:           8
        .value_kind:     global_buffer
      - .address_space:  global
        .offset:         72
        .size:           8
        .value_kind:     global_buffer
      - .offset:         80
        .size:           4
        .value_kind:     by_value
      - .address_space:  global
        .offset:         88
        .size:           8
        .value_kind:     global_buffer
      - .address_space:  global
        .offset:         96
        .size:           8
        .value_kind:     global_buffer
    .group_segment_fixed_size: 25000
    .kernarg_segment_align: 8
    .kernarg_segment_size: 104
    .language:       OpenCL C
    .language_version:
      - 2
      - 0
    .max_flat_workgroup_size: 125
    .name:           bluestein_single_fwd_len3125_dim1_sp_op_CI_CI
    .private_segment_fixed_size: 288
    .sgpr_count:     22
    .sgpr_spill_count: 0
    .symbol:         bluestein_single_fwd_len3125_dim1_sp_op_CI_CI.kd
    .uniform_work_group_size: 1
    .uses_dynamic_stack: false
    .vgpr_count:     256
    .vgpr_spill_count: 71
    .wavefront_size: 32
    .workgroup_processor_mode: 1
amdhsa.target:   amdgcn-amd-amdhsa--gfx1100
amdhsa.version:
  - 1
  - 2
...

	.end_amdgpu_metadata
